;; amdgpu-corpus repo=ROCm/rocSOLVER kind=compiled arch=gfx1250 opt=O3
	.amdgcn_target "amdgcn-amd-amdhsa--gfx1250"
	.amdhsa_code_object_version 6
	.section	.text._ZN9rocsolver6v33100L18larfg_kernel_smallILi64EfifPfEEvT1_T3_llPT2_llS4_lS3_lPT0_l,"axG",@progbits,_ZN9rocsolver6v33100L18larfg_kernel_smallILi64EfifPfEEvT1_T3_llPT2_llS4_lS3_lPT0_l,comdat
	.globl	_ZN9rocsolver6v33100L18larfg_kernel_smallILi64EfifPfEEvT1_T3_llPT2_llS4_lS3_lPT0_l ; -- Begin function _ZN9rocsolver6v33100L18larfg_kernel_smallILi64EfifPfEEvT1_T3_llPT2_llS4_lS3_lPT0_l
	.p2align	8
	.type	_ZN9rocsolver6v33100L18larfg_kernel_smallILi64EfifPfEEvT1_T3_llPT2_llS4_lS3_lPT0_l,@function
_ZN9rocsolver6v33100L18larfg_kernel_smallILi64EfifPfEEvT1_T3_llPT2_llS4_lS3_lPT0_l: ; @_ZN9rocsolver6v33100L18larfg_kernel_smallILi64EfifPfEEvT1_T3_llPT2_llS4_lS3_lPT0_l
; %bb.0:
	s_load_b512 s[4:19], s[0:1], 0x8
	s_bfe_u32 s2, ttmp6, 0x40014
	s_lshr_b32 s3, ttmp7, 16
	s_add_co_i32 s2, s2, 1
	s_bfe_u32 s20, ttmp6, 0x40008
	s_mul_i32 s2, s3, s2
	s_getreg_b32 s21, hwreg(HW_REG_IB_STS2, 6, 4)
	s_add_co_i32 s20, s20, s2
	s_cmp_eq_u32 s21, 0
	s_mov_b32 s23, 0
	s_cselect_b32 s22, s3, s20
	s_mov_b64 s[20:21], 0
	s_wait_kmcnt 0x0
	s_cmp_eq_u64 s[10:11], 0
	s_cbranch_scc1 .LBB0_2
; %bb.1:
	s_mul_u64 s[2:3], s[14:15], s[22:23]
	s_delay_alu instid0(SALU_CYCLE_1) | instskip(NEXT) | instid1(SALU_CYCLE_1)
	s_lshl_b64 s[2:3], s[2:3], 2
	s_add_nc_u64 s[2:3], s[10:11], s[2:3]
	s_lshl_b64 s[10:11], s[12:13], 2
	s_delay_alu instid0(SALU_CYCLE_1)
	s_add_nc_u64 s[20:21], s[2:3], s[10:11]
.LBB0_2:
	s_clause 0x3
	s_load_b128 s[12:15], s[0:1], 0x50
	s_load_b32 s24, s[0:1], 0x48
	s_load_b32 s2, s[0:1], 0x0
	s_load_b64 s[10:11], s[0:1], 0x60
	v_mov_b32_e32 v2, 0
	s_wait_kmcnt 0x0
	s_mul_u64 s[0:1], s[12:13], s[22:23]
	v_mul_lo_u32 v1, v0, s24
	s_lshl_b64 s[0:1], s[0:1], 2
	s_add_co_i32 s12, s2, -1
	s_add_nc_u64 s[2:3], s[16:17], s[0:1]
	v_cmp_gt_i32_e64 s0, s12, v0
	s_lshl_b64 s[16:17], s[18:19], 2
	s_delay_alu instid0(SALU_CYCLE_1)
	s_add_nc_u64 s[2:3], s[2:3], s[16:17]
	s_and_saveexec_b32 s1, s0
	s_cbranch_execz .LBB0_6
; %bb.3:
	v_mul_lo_u32 v3, v0, s24
	v_dual_mov_b32 v2, 0 :: v_dual_mov_b32 v4, v0
	s_lshl_b32 s16, s24, 6
	s_mov_b32 s13, 0
.LBB0_4:                                ; =>This Inner Loop Header: Depth=1
	global_load_b32 v5, v3, s[2:3] scale_offset
	s_wait_xcnt 0x0
	v_dual_add_nc_u32 v4, 64, v4 :: v_dual_add_nc_u32 v3, s16, v3
	s_delay_alu instid0(VALU_DEP_1)
	v_cmp_le_i32_e32 vcc_lo, s12, v4
	s_or_b32 s13, vcc_lo, s13
	s_wait_loadcnt 0x0
	v_fmac_f32_e32 v2, v5, v5
	s_and_not1_b32 exec_lo, exec_lo, s13
	s_cbranch_execnz .LBB0_4
; %bb.5:
	s_or_b32 exec_lo, exec_lo, s13
.LBB0_6:
	s_delay_alu instid0(SALU_CYCLE_1) | instskip(SKIP_2) | instid1(VALU_DEP_1)
	s_or_b32 exec_lo, exec_lo, s1
	v_mbcnt_lo_u32_b32 v3, -1, 0
	s_mov_b32 s1, exec_lo
	v_cmp_ne_u32_e32 vcc_lo, 31, v3
	v_add_co_ci_u32_e64 v4, null, 0, v3, vcc_lo
	v_cmp_gt_u32_e32 vcc_lo, 30, v3
	s_delay_alu instid0(VALU_DEP_2)
	v_lshlrev_b32_e32 v4, 2, v4
	v_cndmask_b32_e64 v5, 0, 2, vcc_lo
	v_cmp_gt_u32_e32 vcc_lo, 28, v3
	ds_bpermute_b32 v4, v4, v2
	v_add_lshl_u32 v5, v5, v3, 2
	s_wait_dscnt 0x0
	v_add_f32_e32 v2, v2, v4
	ds_bpermute_b32 v4, v5, v2
	v_cndmask_b32_e64 v5, 0, 4, vcc_lo
	v_cmp_gt_u32_e32 vcc_lo, 24, v3
	s_delay_alu instid0(VALU_DEP_2) | instskip(SKIP_4) | instid1(VALU_DEP_1)
	v_add_lshl_u32 v5, v5, v3, 2
	s_wait_dscnt 0x0
	v_add_f32_e32 v2, v2, v4
	ds_bpermute_b32 v4, v5, v2
	v_cndmask_b32_e64 v5, 0, 8, vcc_lo
	v_add_lshl_u32 v5, v5, v3, 2
	v_lshl_or_b32 v3, v3, 2, 64
	s_wait_dscnt 0x0
	v_add_f32_e32 v2, v2, v4
	ds_bpermute_b32 v4, v5, v2
	s_wait_dscnt 0x0
	v_add_f32_e32 v2, v2, v4
	v_and_b32_e32 v4, 31, v0
	ds_bpermute_b32 v3, v3, v2
	s_wait_dscnt 0x0
	v_add_f32_e32 v2, v2, v3
	v_cmpx_eq_u32_e32 0, v4
; %bb.7:
	v_lshrrev_b32_e32 v3, 3, v0
	ds_store_b32 v3, v2
; %bb.8:
	s_or_b32 exec_lo, exec_lo, s1
	v_cmp_eq_u32_e32 vcc_lo, 0, v0
	s_wait_dscnt 0x0
	s_barrier_signal -1
	s_barrier_wait -1
	s_and_saveexec_b32 s1, vcc_lo
	s_cbranch_execz .LBB0_10
; %bb.9:
	v_mov_b32_e32 v3, 0
	ds_load_b32 v4, v3 offset:4
	s_wait_dscnt 0x0
	v_add_f32_e32 v2, v2, v4
	ds_store_b32 v3, v2
.LBB0_10:
	s_or_b32 exec_lo, exec_lo, s1
	s_wait_dscnt 0x0
	s_barrier_signal -1
	s_barrier_wait -1
	s_and_saveexec_b32 s13, vcc_lo
	s_cbranch_execz .LBB0_20
; %bb.11:
	v_mov_b32_e32 v2, 0
	s_mul_u64 s[8:9], s[8:9], s[22:23]
	s_lshl_b64 s[6:7], s[6:7], 2
	s_lshl_b64 s[8:9], s[8:9], 2
	s_delay_alu instid0(SALU_CYCLE_1)
	s_add_nc_u64 s[4:5], s[4:5], s[8:9]
	ds_load_b32 v3, v2
	s_mul_u64 s[8:9], s[10:11], s[22:23]
	s_add_nc_u64 s[4:5], s[4:5], s[6:7]
	s_lshl_b64 s[8:9], s[8:9], 2
	s_cmp_eq_u64 s[20:21], 0
	s_add_nc_u64 s[6:7], s[14:15], s[8:9]
	s_cselect_b32 s8, -1, 0
	s_cmp_lg_u64 s[20:21], 0
	s_mov_b32 s10, 0
	s_cselect_b32 s9, -1, 0
	s_wait_dscnt 0x0
	v_cmp_nlt_f32_e32 vcc_lo, 0, v3
	v_readfirstlane_b32 s1, v3
	s_cbranch_vccz .LBB0_14
; %bb.12:
	v_mov_b32_e32 v3, 1.0
	s_mov_b32 s14, 0
	s_and_b32 vcc_lo, exec_lo, s9
	global_store_b32 v2, v2, s[6:7]
	ds_store_b32 v2, v3
	s_cbranch_vccz .LBB0_15
; %bb.13:
	s_wait_xcnt 0x0
	v_mov_b32_e32 v2, 0
	s_mov_b32 s11, -1
	global_load_b32 v2, v2, s[4:5]
	s_and_b32 vcc_lo, exec_lo, s14
	s_cbranch_vccnz .LBB0_16
	s_branch .LBB0_17
.LBB0_14:
	s_mov_b32 s14, -1
.LBB0_15:
	s_mov_b32 s11, 0
                                        ; implicit-def: $vgpr2
	s_and_b32 vcc_lo, exec_lo, s14
	s_cbranch_vccz .LBB0_17
.LBB0_16:
	v_mov_b32_e32 v3, 0
	global_load_b32 v4, v3, s[4:5]
	s_wait_loadcnt 0x0
	v_readfirstlane_b32 s10, v4
	v_cmp_le_f32_e32 vcc_lo, 0, v4
	s_fmac_f32 s1, s10, s10
	s_delay_alu instid0(SALU_CYCLE_3) | instskip(SKIP_1) | instid1(SALU_CYCLE_2)
	s_mul_f32 s10, s1, 0x4f800000
	s_cmp_lt_f32 s1, 0xf800000
	s_cselect_b32 s10, s10, s1
	s_delay_alu instid0(SALU_CYCLE_1) | instskip(SKIP_1) | instid1(TRANS32_DEP_1)
	v_s_sqrt_f32 s11, s10
	s_mov_b32 s15, s10
	s_add_co_i32 s14, s11, -1
	s_delay_alu instid0(SALU_CYCLE_1) | instskip(NEXT) | instid1(SALU_CYCLE_1)
	s_xor_b32 s16, s14, 0x80000000
	s_fmac_f32 s15, s16, s11
	s_mov_b32 s16, s10
	s_delay_alu instid0(SALU_CYCLE_2) | instskip(SKIP_2) | instid1(SALU_CYCLE_1)
	s_cmp_le_f32 s15, 0
	s_cselect_b32 s14, s14, s11
	s_add_co_i32 s15, s11, 1
	s_xor_b32 s17, s15, 0x80000000
	s_delay_alu instid0(SALU_CYCLE_1) | instskip(SKIP_1) | instid1(SALU_CYCLE_2)
	s_fmac_f32 s16, s17, s11
	v_cmp_class_f32_e64 s11, s10, 0x260
	s_cmp_gt_f32 s16, 0
	s_cselect_b32 s14, s15, s14
	s_cmp_lt_f32 s1, 0xf800000
	s_mul_f32 s1, s14, 0x37800000
	s_delay_alu instid0(SALU_CYCLE_3)
	s_cselect_b32 s1, s1, s14
	s_and_b32 s11, s11, exec_lo
	s_cselect_b32 s1, s10, s1
	s_mov_b32 s11, s9
	s_xor_b32 s10, s1, 0x80000000
	s_wait_xcnt 0x1
	v_mov_b32_e32 v2, s10
	s_mov_b32 s10, s8
	s_delay_alu instid0(VALU_DEP_1) | instskip(NEXT) | instid1(VALU_DEP_1)
	v_cndmask_b32_e32 v2, s1, v2, vcc_lo
	v_sub_f32_e32 v5, v4, v2
	s_delay_alu instid0(VALU_DEP_1) | instskip(NEXT) | instid1(VALU_DEP_1)
	v_div_scale_f32 v6, null, v5, v5, 1.0
	v_rcp_f32_e32 v8, v6
	v_nop
	v_xor_b32_e32 v6, 0x80000000, v6
	s_delay_alu instid0(TRANS32_DEP_1) | instid1(VALU_DEP_1)
	v_fma_f32 v10, v6, v8, 1.0
	s_delay_alu instid0(VALU_DEP_1) | instskip(SKIP_2) | instid1(VALU_DEP_2)
	v_fmac_f32_e32 v8, v10, v8
	v_sub_f32_e32 v4, v2, v4
	v_div_scale_f32 v12, vcc_lo, 1.0, v5, 1.0
	v_div_scale_f32 v7, null, v2, v2, v4
	v_div_scale_f32 v10, s1, v4, v2, v4
	s_delay_alu instid0(VALU_DEP_2)
	v_rcp_f32_e32 v9, v7
	v_nop
	v_xor_b32_e32 v7, 0x80000000, v7
	s_delay_alu instid0(TRANS32_DEP_1) | instid1(VALU_DEP_1)
	v_fma_f32 v11, v7, v9, 1.0
	s_delay_alu instid0(VALU_DEP_1) | instskip(NEXT) | instid1(VALU_DEP_1)
	v_dual_fmac_f32 v9, v11, v9 :: v_dual_mul_f32 v11, v12, v8
	v_mul_f32_e32 v13, v10, v9
	s_delay_alu instid0(VALU_DEP_1) | instskip(NEXT) | instid1(VALU_DEP_1)
	v_dual_fma_f32 v14, v6, v11, v12 :: v_dual_fma_f32 v15, v7, v13, v10
	v_dual_fmac_f32 v11, v14, v8 :: v_dual_fmac_f32 v13, v15, v9
	s_delay_alu instid0(VALU_DEP_1) | instskip(NEXT) | instid1(VALU_DEP_1)
	v_dual_fmac_f32 v12, v6, v11 :: v_dual_fmac_f32 v10, v7, v13
	v_div_fmas_f32 v6, v12, v8, v11
	s_mov_b32 vcc_lo, s1
	s_delay_alu instid0(VALU_DEP_2) | instskip(NEXT) | instid1(VALU_DEP_2)
	v_div_fmas_f32 v7, v10, v9, v13
	v_div_fixup_f32 v5, v6, v5, 1.0
	s_delay_alu instid0(VALU_DEP_2)
	v_div_fixup_f32 v4, v7, v2, v4
	ds_store_b32 v3, v5
	global_store_b32 v3, v4, s[6:7]
.LBB0_17:
	s_and_not1_b32 vcc_lo, exec_lo, s11
	s_cbranch_vccz .LBB0_24
; %bb.18:
	s_and_not1_b32 vcc_lo, exec_lo, s10
	s_cbranch_vccnz .LBB0_20
.LBB0_19:
	s_wait_xcnt 0x0
	v_mov_b32_e32 v3, 0
	s_wait_loadcnt 0x0
	global_store_b32 v3, v2, s[4:5]
.LBB0_20:
	s_wait_xcnt 0x0
	s_or_b32 exec_lo, exec_lo, s13
	s_wait_storecnt 0x0
	s_wait_loadcnt_dscnt 0x0
	s_barrier_signal -1
	s_barrier_wait -1
	s_and_saveexec_b32 s1, s0
	s_cbranch_execz .LBB0_23
; %bb.21:
	v_mov_b32_e32 v2, 0
	s_lshl_b32 s0, s24, 6
	s_mov_b32 s1, 0
	ds_load_b32 v2, v2
.LBB0_22:                               ; =>This Inner Loop Header: Depth=1
	global_load_b32 v3, v1, s[2:3] scale_offset
	s_wait_loadcnt_dscnt 0x0
	v_dual_mul_f32 v3, v2, v3 :: v_dual_add_nc_u32 v0, 64, v0
	s_delay_alu instid0(VALU_DEP_1) | instskip(SKIP_4) | instid1(SALU_CYCLE_1)
	v_cmp_le_i32_e32 vcc_lo, s12, v0
	global_store_b32 v1, v3, s[2:3] scale_offset
	s_wait_xcnt 0x0
	v_add_nc_u32_e32 v1, s0, v1
	s_or_b32 s1, vcc_lo, s1
	s_and_not1_b32 exec_lo, exec_lo, s1
	s_cbranch_execnz .LBB0_22
.LBB0_23:
	s_endpgm
.LBB0_24:
	s_wait_xcnt 0x0
	v_mov_b32_e32 v3, 0
	s_wait_loadcnt 0x0
	global_store_b32 v3, v2, s[20:21]
	s_wait_xcnt 0x0
	v_mov_b32_e32 v2, 1.0
	s_branch .LBB0_19
	.section	.rodata,"a",@progbits
	.p2align	6, 0x0
	.amdhsa_kernel _ZN9rocsolver6v33100L18larfg_kernel_smallILi64EfifPfEEvT1_T3_llPT2_llS4_lS3_lPT0_l
		.amdhsa_group_segment_fixed_size 8
		.amdhsa_private_segment_fixed_size 0
		.amdhsa_kernarg_size 104
		.amdhsa_user_sgpr_count 2
		.amdhsa_user_sgpr_dispatch_ptr 0
		.amdhsa_user_sgpr_queue_ptr 0
		.amdhsa_user_sgpr_kernarg_segment_ptr 1
		.amdhsa_user_sgpr_dispatch_id 0
		.amdhsa_user_sgpr_kernarg_preload_length 0
		.amdhsa_user_sgpr_kernarg_preload_offset 0
		.amdhsa_user_sgpr_private_segment_size 0
		.amdhsa_wavefront_size32 1
		.amdhsa_uses_dynamic_stack 0
		.amdhsa_enable_private_segment 0
		.amdhsa_system_sgpr_workgroup_id_x 1
		.amdhsa_system_sgpr_workgroup_id_y 0
		.amdhsa_system_sgpr_workgroup_id_z 1
		.amdhsa_system_sgpr_workgroup_info 0
		.amdhsa_system_vgpr_workitem_id 0
		.amdhsa_next_free_vgpr 16
		.amdhsa_next_free_sgpr 25
		.amdhsa_named_barrier_count 0
		.amdhsa_reserve_vcc 1
		.amdhsa_float_round_mode_32 0
		.amdhsa_float_round_mode_16_64 0
		.amdhsa_float_denorm_mode_32 3
		.amdhsa_float_denorm_mode_16_64 3
		.amdhsa_fp16_overflow 0
		.amdhsa_memory_ordered 1
		.amdhsa_forward_progress 1
		.amdhsa_inst_pref_size 11
		.amdhsa_round_robin_scheduling 0
		.amdhsa_exception_fp_ieee_invalid_op 0
		.amdhsa_exception_fp_denorm_src 0
		.amdhsa_exception_fp_ieee_div_zero 0
		.amdhsa_exception_fp_ieee_overflow 0
		.amdhsa_exception_fp_ieee_underflow 0
		.amdhsa_exception_fp_ieee_inexact 0
		.amdhsa_exception_int_div_zero 0
	.end_amdhsa_kernel
	.section	.text._ZN9rocsolver6v33100L18larfg_kernel_smallILi64EfifPfEEvT1_T3_llPT2_llS4_lS3_lPT0_l,"axG",@progbits,_ZN9rocsolver6v33100L18larfg_kernel_smallILi64EfifPfEEvT1_T3_llPT2_llS4_lS3_lPT0_l,comdat
.Lfunc_end0:
	.size	_ZN9rocsolver6v33100L18larfg_kernel_smallILi64EfifPfEEvT1_T3_llPT2_llS4_lS3_lPT0_l, .Lfunc_end0-_ZN9rocsolver6v33100L18larfg_kernel_smallILi64EfifPfEEvT1_T3_llPT2_llS4_lS3_lPT0_l
                                        ; -- End function
	.set _ZN9rocsolver6v33100L18larfg_kernel_smallILi64EfifPfEEvT1_T3_llPT2_llS4_lS3_lPT0_l.num_vgpr, 16
	.set _ZN9rocsolver6v33100L18larfg_kernel_smallILi64EfifPfEEvT1_T3_llPT2_llS4_lS3_lPT0_l.num_agpr, 0
	.set _ZN9rocsolver6v33100L18larfg_kernel_smallILi64EfifPfEEvT1_T3_llPT2_llS4_lS3_lPT0_l.numbered_sgpr, 25
	.set _ZN9rocsolver6v33100L18larfg_kernel_smallILi64EfifPfEEvT1_T3_llPT2_llS4_lS3_lPT0_l.num_named_barrier, 0
	.set _ZN9rocsolver6v33100L18larfg_kernel_smallILi64EfifPfEEvT1_T3_llPT2_llS4_lS3_lPT0_l.private_seg_size, 0
	.set _ZN9rocsolver6v33100L18larfg_kernel_smallILi64EfifPfEEvT1_T3_llPT2_llS4_lS3_lPT0_l.uses_vcc, 1
	.set _ZN9rocsolver6v33100L18larfg_kernel_smallILi64EfifPfEEvT1_T3_llPT2_llS4_lS3_lPT0_l.uses_flat_scratch, 0
	.set _ZN9rocsolver6v33100L18larfg_kernel_smallILi64EfifPfEEvT1_T3_llPT2_llS4_lS3_lPT0_l.has_dyn_sized_stack, 0
	.set _ZN9rocsolver6v33100L18larfg_kernel_smallILi64EfifPfEEvT1_T3_llPT2_llS4_lS3_lPT0_l.has_recursion, 0
	.set _ZN9rocsolver6v33100L18larfg_kernel_smallILi64EfifPfEEvT1_T3_llPT2_llS4_lS3_lPT0_l.has_indirect_call, 0
	.section	.AMDGPU.csdata,"",@progbits
; Kernel info:
; codeLenInByte = 1396
; TotalNumSgprs: 27
; NumVgprs: 16
; ScratchSize: 0
; MemoryBound: 0
; FloatMode: 240
; IeeeMode: 1
; LDSByteSize: 8 bytes/workgroup (compile time only)
; SGPRBlocks: 0
; VGPRBlocks: 0
; NumSGPRsForWavesPerEU: 27
; NumVGPRsForWavesPerEU: 16
; NamedBarCnt: 0
; Occupancy: 16
; WaveLimiterHint : 1
; COMPUTE_PGM_RSRC2:SCRATCH_EN: 0
; COMPUTE_PGM_RSRC2:USER_SGPR: 2
; COMPUTE_PGM_RSRC2:TRAP_HANDLER: 0
; COMPUTE_PGM_RSRC2:TGID_X_EN: 1
; COMPUTE_PGM_RSRC2:TGID_Y_EN: 0
; COMPUTE_PGM_RSRC2:TGID_Z_EN: 1
; COMPUTE_PGM_RSRC2:TIDIG_COMP_CNT: 0
	.section	.text._ZN9rocsolver6v33100L18larfg_kernel_smallILi128EfifPfEEvT1_T3_llPT2_llS4_lS3_lPT0_l,"axG",@progbits,_ZN9rocsolver6v33100L18larfg_kernel_smallILi128EfifPfEEvT1_T3_llPT2_llS4_lS3_lPT0_l,comdat
	.globl	_ZN9rocsolver6v33100L18larfg_kernel_smallILi128EfifPfEEvT1_T3_llPT2_llS4_lS3_lPT0_l ; -- Begin function _ZN9rocsolver6v33100L18larfg_kernel_smallILi128EfifPfEEvT1_T3_llPT2_llS4_lS3_lPT0_l
	.p2align	8
	.type	_ZN9rocsolver6v33100L18larfg_kernel_smallILi128EfifPfEEvT1_T3_llPT2_llS4_lS3_lPT0_l,@function
_ZN9rocsolver6v33100L18larfg_kernel_smallILi128EfifPfEEvT1_T3_llPT2_llS4_lS3_lPT0_l: ; @_ZN9rocsolver6v33100L18larfg_kernel_smallILi128EfifPfEEvT1_T3_llPT2_llS4_lS3_lPT0_l
; %bb.0:
	s_load_b512 s[4:19], s[0:1], 0x8
	s_bfe_u32 s2, ttmp6, 0x40014
	s_lshr_b32 s3, ttmp7, 16
	s_add_co_i32 s2, s2, 1
	s_bfe_u32 s20, ttmp6, 0x40008
	s_mul_i32 s2, s3, s2
	s_getreg_b32 s21, hwreg(HW_REG_IB_STS2, 6, 4)
	s_add_co_i32 s20, s20, s2
	s_cmp_eq_u32 s21, 0
	s_mov_b32 s23, 0
	s_cselect_b32 s22, s3, s20
	s_mov_b64 s[20:21], 0
	s_wait_kmcnt 0x0
	s_cmp_eq_u64 s[10:11], 0
	s_cbranch_scc1 .LBB1_2
; %bb.1:
	s_mul_u64 s[2:3], s[14:15], s[22:23]
	s_delay_alu instid0(SALU_CYCLE_1) | instskip(NEXT) | instid1(SALU_CYCLE_1)
	s_lshl_b64 s[2:3], s[2:3], 2
	s_add_nc_u64 s[2:3], s[10:11], s[2:3]
	s_lshl_b64 s[10:11], s[12:13], 2
	s_delay_alu instid0(SALU_CYCLE_1)
	s_add_nc_u64 s[20:21], s[2:3], s[10:11]
.LBB1_2:
	s_clause 0x3
	s_load_b128 s[12:15], s[0:1], 0x50
	s_load_b32 s24, s[0:1], 0x48
	s_load_b32 s2, s[0:1], 0x0
	s_load_b64 s[10:11], s[0:1], 0x60
	v_mov_b32_e32 v2, 0
	s_wait_kmcnt 0x0
	s_mul_u64 s[0:1], s[12:13], s[22:23]
	v_mul_lo_u32 v1, v0, s24
	s_lshl_b64 s[0:1], s[0:1], 2
	s_add_co_i32 s12, s2, -1
	s_add_nc_u64 s[2:3], s[16:17], s[0:1]
	v_cmp_gt_i32_e64 s0, s12, v0
	s_lshl_b64 s[16:17], s[18:19], 2
	s_delay_alu instid0(SALU_CYCLE_1)
	s_add_nc_u64 s[2:3], s[2:3], s[16:17]
	s_and_saveexec_b32 s1, s0
	s_cbranch_execz .LBB1_6
; %bb.3:
	v_mul_lo_u32 v3, v0, s24
	v_dual_mov_b32 v2, 0 :: v_dual_mov_b32 v4, v0
	s_lshl_b32 s16, s24, 7
	s_mov_b32 s13, 0
.LBB1_4:                                ; =>This Inner Loop Header: Depth=1
	global_load_b32 v5, v3, s[2:3] scale_offset
	v_add_nc_u32_e32 v4, 0x80, v4
	s_wait_xcnt 0x0
	v_add_nc_u32_e32 v3, s16, v3
	s_delay_alu instid0(VALU_DEP_2)
	v_cmp_le_i32_e32 vcc_lo, s12, v4
	s_or_b32 s13, vcc_lo, s13
	s_wait_loadcnt 0x0
	v_fmac_f32_e32 v2, v5, v5
	s_and_not1_b32 exec_lo, exec_lo, s13
	s_cbranch_execnz .LBB1_4
; %bb.5:
	s_or_b32 exec_lo, exec_lo, s13
.LBB1_6:
	s_delay_alu instid0(SALU_CYCLE_1) | instskip(SKIP_2) | instid1(VALU_DEP_1)
	s_or_b32 exec_lo, exec_lo, s1
	v_mbcnt_lo_u32_b32 v3, -1, 0
	s_mov_b32 s1, exec_lo
	v_cmp_ne_u32_e32 vcc_lo, 31, v3
	v_add_co_ci_u32_e64 v4, null, 0, v3, vcc_lo
	v_cmp_gt_u32_e32 vcc_lo, 30, v3
	s_delay_alu instid0(VALU_DEP_2)
	v_lshlrev_b32_e32 v4, 2, v4
	v_cndmask_b32_e64 v5, 0, 2, vcc_lo
	v_cmp_gt_u32_e32 vcc_lo, 28, v3
	ds_bpermute_b32 v4, v4, v2
	v_add_lshl_u32 v5, v5, v3, 2
	s_wait_dscnt 0x0
	v_add_f32_e32 v2, v2, v4
	ds_bpermute_b32 v4, v5, v2
	v_cndmask_b32_e64 v5, 0, 4, vcc_lo
	v_cmp_gt_u32_e32 vcc_lo, 24, v3
	s_delay_alu instid0(VALU_DEP_2) | instskip(SKIP_4) | instid1(VALU_DEP_1)
	v_add_lshl_u32 v5, v5, v3, 2
	s_wait_dscnt 0x0
	v_add_f32_e32 v2, v2, v4
	ds_bpermute_b32 v4, v5, v2
	v_cndmask_b32_e64 v5, 0, 8, vcc_lo
	v_add_lshl_u32 v5, v5, v3, 2
	v_lshl_or_b32 v3, v3, 2, 64
	s_wait_dscnt 0x0
	v_add_f32_e32 v2, v2, v4
	ds_bpermute_b32 v4, v5, v2
	s_wait_dscnt 0x0
	v_add_f32_e32 v2, v2, v4
	v_and_b32_e32 v4, 31, v0
	ds_bpermute_b32 v3, v3, v2
	s_wait_dscnt 0x0
	v_add_f32_e32 v2, v2, v3
	v_cmpx_eq_u32_e32 0, v4
; %bb.7:
	v_lshrrev_b32_e32 v3, 3, v0
	ds_store_b32 v3, v2
; %bb.8:
	s_or_b32 exec_lo, exec_lo, s1
	v_cmp_eq_u32_e32 vcc_lo, 0, v0
	s_wait_dscnt 0x0
	s_barrier_signal -1
	s_barrier_wait -1
	s_and_saveexec_b32 s1, vcc_lo
	s_cbranch_execz .LBB1_10
; %bb.9:
	v_mov_b32_e32 v3, 0
	ds_load_2addr_b32 v[4:5], v3 offset0:1 offset1:2
	ds_load_b32 v6, v3 offset:12
	s_wait_dscnt 0x1
	v_add_f32_e32 v2, v2, v4
	s_delay_alu instid0(VALU_DEP_1) | instskip(SKIP_1) | instid1(VALU_DEP_1)
	v_add_f32_e32 v2, v2, v5
	s_wait_dscnt 0x0
	v_add_f32_e32 v2, v2, v6
	ds_store_b32 v3, v2
.LBB1_10:
	s_or_b32 exec_lo, exec_lo, s1
	s_wait_dscnt 0x0
	s_barrier_signal -1
	s_barrier_wait -1
	s_and_saveexec_b32 s13, vcc_lo
	s_cbranch_execz .LBB1_20
; %bb.11:
	v_mov_b32_e32 v2, 0
	s_mul_u64 s[8:9], s[8:9], s[22:23]
	s_lshl_b64 s[6:7], s[6:7], 2
	s_lshl_b64 s[8:9], s[8:9], 2
	s_delay_alu instid0(SALU_CYCLE_1)
	s_add_nc_u64 s[4:5], s[4:5], s[8:9]
	ds_load_b32 v3, v2
	s_mul_u64 s[8:9], s[10:11], s[22:23]
	s_add_nc_u64 s[4:5], s[4:5], s[6:7]
	s_lshl_b64 s[8:9], s[8:9], 2
	s_cmp_eq_u64 s[20:21], 0
	s_add_nc_u64 s[6:7], s[14:15], s[8:9]
	s_cselect_b32 s8, -1, 0
	s_cmp_lg_u64 s[20:21], 0
	s_mov_b32 s10, 0
	s_cselect_b32 s9, -1, 0
	s_wait_dscnt 0x0
	v_cmp_nlt_f32_e32 vcc_lo, 0, v3
	v_readfirstlane_b32 s1, v3
	s_cbranch_vccz .LBB1_14
; %bb.12:
	v_mov_b32_e32 v3, 1.0
	s_mov_b32 s14, 0
	s_and_b32 vcc_lo, exec_lo, s9
	global_store_b32 v2, v2, s[6:7]
	ds_store_b32 v2, v3
	s_cbranch_vccz .LBB1_15
; %bb.13:
	s_wait_xcnt 0x0
	v_mov_b32_e32 v2, 0
	s_mov_b32 s11, -1
	global_load_b32 v2, v2, s[4:5]
	s_and_b32 vcc_lo, exec_lo, s14
	s_cbranch_vccnz .LBB1_16
	s_branch .LBB1_17
.LBB1_14:
	s_mov_b32 s14, -1
.LBB1_15:
	s_mov_b32 s11, 0
                                        ; implicit-def: $vgpr2
	s_and_b32 vcc_lo, exec_lo, s14
	s_cbranch_vccz .LBB1_17
.LBB1_16:
	v_mov_b32_e32 v3, 0
	global_load_b32 v4, v3, s[4:5]
	s_wait_loadcnt 0x0
	v_readfirstlane_b32 s10, v4
	v_cmp_le_f32_e32 vcc_lo, 0, v4
	s_fmac_f32 s1, s10, s10
	s_delay_alu instid0(SALU_CYCLE_3) | instskip(SKIP_1) | instid1(SALU_CYCLE_2)
	s_mul_f32 s10, s1, 0x4f800000
	s_cmp_lt_f32 s1, 0xf800000
	s_cselect_b32 s10, s10, s1
	s_delay_alu instid0(SALU_CYCLE_1) | instskip(SKIP_1) | instid1(TRANS32_DEP_1)
	v_s_sqrt_f32 s11, s10
	s_mov_b32 s15, s10
	s_add_co_i32 s14, s11, -1
	s_delay_alu instid0(SALU_CYCLE_1) | instskip(NEXT) | instid1(SALU_CYCLE_1)
	s_xor_b32 s16, s14, 0x80000000
	s_fmac_f32 s15, s16, s11
	s_mov_b32 s16, s10
	s_delay_alu instid0(SALU_CYCLE_2) | instskip(SKIP_2) | instid1(SALU_CYCLE_1)
	s_cmp_le_f32 s15, 0
	s_cselect_b32 s14, s14, s11
	s_add_co_i32 s15, s11, 1
	s_xor_b32 s17, s15, 0x80000000
	s_delay_alu instid0(SALU_CYCLE_1) | instskip(SKIP_1) | instid1(SALU_CYCLE_2)
	s_fmac_f32 s16, s17, s11
	v_cmp_class_f32_e64 s11, s10, 0x260
	s_cmp_gt_f32 s16, 0
	s_cselect_b32 s14, s15, s14
	s_cmp_lt_f32 s1, 0xf800000
	s_mul_f32 s1, s14, 0x37800000
	s_delay_alu instid0(SALU_CYCLE_3)
	s_cselect_b32 s1, s1, s14
	s_and_b32 s11, s11, exec_lo
	s_cselect_b32 s1, s10, s1
	s_mov_b32 s11, s9
	s_xor_b32 s10, s1, 0x80000000
	s_wait_xcnt 0x1
	v_mov_b32_e32 v2, s10
	s_mov_b32 s10, s8
	s_delay_alu instid0(VALU_DEP_1) | instskip(NEXT) | instid1(VALU_DEP_1)
	v_cndmask_b32_e32 v2, s1, v2, vcc_lo
	v_sub_f32_e32 v5, v4, v2
	s_delay_alu instid0(VALU_DEP_1) | instskip(NEXT) | instid1(VALU_DEP_1)
	v_div_scale_f32 v6, null, v5, v5, 1.0
	v_rcp_f32_e32 v8, v6
	v_nop
	v_xor_b32_e32 v6, 0x80000000, v6
	s_delay_alu instid0(TRANS32_DEP_1) | instid1(VALU_DEP_1)
	v_fma_f32 v10, v6, v8, 1.0
	s_delay_alu instid0(VALU_DEP_1) | instskip(SKIP_2) | instid1(VALU_DEP_2)
	v_fmac_f32_e32 v8, v10, v8
	v_sub_f32_e32 v4, v2, v4
	v_div_scale_f32 v12, vcc_lo, 1.0, v5, 1.0
	v_div_scale_f32 v7, null, v2, v2, v4
	v_div_scale_f32 v10, s1, v4, v2, v4
	s_delay_alu instid0(VALU_DEP_2)
	v_rcp_f32_e32 v9, v7
	v_nop
	v_xor_b32_e32 v7, 0x80000000, v7
	s_delay_alu instid0(TRANS32_DEP_1) | instid1(VALU_DEP_1)
	v_fma_f32 v11, v7, v9, 1.0
	s_delay_alu instid0(VALU_DEP_1) | instskip(NEXT) | instid1(VALU_DEP_1)
	v_dual_fmac_f32 v9, v11, v9 :: v_dual_mul_f32 v11, v12, v8
	v_mul_f32_e32 v13, v10, v9
	s_delay_alu instid0(VALU_DEP_1) | instskip(NEXT) | instid1(VALU_DEP_1)
	v_dual_fma_f32 v14, v6, v11, v12 :: v_dual_fma_f32 v15, v7, v13, v10
	v_dual_fmac_f32 v11, v14, v8 :: v_dual_fmac_f32 v13, v15, v9
	s_delay_alu instid0(VALU_DEP_1) | instskip(NEXT) | instid1(VALU_DEP_1)
	v_dual_fmac_f32 v12, v6, v11 :: v_dual_fmac_f32 v10, v7, v13
	v_div_fmas_f32 v6, v12, v8, v11
	s_mov_b32 vcc_lo, s1
	s_delay_alu instid0(VALU_DEP_2) | instskip(NEXT) | instid1(VALU_DEP_2)
	v_div_fmas_f32 v7, v10, v9, v13
	v_div_fixup_f32 v5, v6, v5, 1.0
	s_delay_alu instid0(VALU_DEP_2)
	v_div_fixup_f32 v4, v7, v2, v4
	ds_store_b32 v3, v5
	global_store_b32 v3, v4, s[6:7]
.LBB1_17:
	s_and_not1_b32 vcc_lo, exec_lo, s11
	s_cbranch_vccz .LBB1_24
; %bb.18:
	s_and_not1_b32 vcc_lo, exec_lo, s10
	s_cbranch_vccnz .LBB1_20
.LBB1_19:
	s_wait_xcnt 0x0
	v_mov_b32_e32 v3, 0
	s_wait_loadcnt 0x0
	global_store_b32 v3, v2, s[4:5]
.LBB1_20:
	s_wait_xcnt 0x0
	s_or_b32 exec_lo, exec_lo, s13
	s_wait_storecnt 0x0
	s_wait_loadcnt_dscnt 0x0
	s_barrier_signal -1
	s_barrier_wait -1
	s_and_saveexec_b32 s1, s0
	s_cbranch_execz .LBB1_23
; %bb.21:
	v_mov_b32_e32 v2, 0
	s_lshl_b32 s0, s24, 7
	s_mov_b32 s1, 0
	ds_load_b32 v2, v2
.LBB1_22:                               ; =>This Inner Loop Header: Depth=1
	global_load_b32 v3, v1, s[2:3] scale_offset
	s_wait_loadcnt_dscnt 0x0
	v_dual_mul_f32 v3, v2, v3 :: v_dual_add_nc_u32 v0, 0x80, v0
	s_delay_alu instid0(VALU_DEP_1) | instskip(SKIP_4) | instid1(SALU_CYCLE_1)
	v_cmp_le_i32_e32 vcc_lo, s12, v0
	global_store_b32 v1, v3, s[2:3] scale_offset
	s_wait_xcnt 0x0
	v_add_nc_u32_e32 v1, s0, v1
	s_or_b32 s1, vcc_lo, s1
	s_and_not1_b32 exec_lo, exec_lo, s1
	s_cbranch_execnz .LBB1_22
.LBB1_23:
	s_endpgm
.LBB1_24:
	s_wait_xcnt 0x0
	v_mov_b32_e32 v3, 0
	s_wait_loadcnt 0x0
	global_store_b32 v3, v2, s[20:21]
	s_wait_xcnt 0x0
	v_mov_b32_e32 v2, 1.0
	s_branch .LBB1_19
	.section	.rodata,"a",@progbits
	.p2align	6, 0x0
	.amdhsa_kernel _ZN9rocsolver6v33100L18larfg_kernel_smallILi128EfifPfEEvT1_T3_llPT2_llS4_lS3_lPT0_l
		.amdhsa_group_segment_fixed_size 16
		.amdhsa_private_segment_fixed_size 0
		.amdhsa_kernarg_size 104
		.amdhsa_user_sgpr_count 2
		.amdhsa_user_sgpr_dispatch_ptr 0
		.amdhsa_user_sgpr_queue_ptr 0
		.amdhsa_user_sgpr_kernarg_segment_ptr 1
		.amdhsa_user_sgpr_dispatch_id 0
		.amdhsa_user_sgpr_kernarg_preload_length 0
		.amdhsa_user_sgpr_kernarg_preload_offset 0
		.amdhsa_user_sgpr_private_segment_size 0
		.amdhsa_wavefront_size32 1
		.amdhsa_uses_dynamic_stack 0
		.amdhsa_enable_private_segment 0
		.amdhsa_system_sgpr_workgroup_id_x 1
		.amdhsa_system_sgpr_workgroup_id_y 0
		.amdhsa_system_sgpr_workgroup_id_z 1
		.amdhsa_system_sgpr_workgroup_info 0
		.amdhsa_system_vgpr_workitem_id 0
		.amdhsa_next_free_vgpr 16
		.amdhsa_next_free_sgpr 25
		.amdhsa_named_barrier_count 0
		.amdhsa_reserve_vcc 1
		.amdhsa_float_round_mode_32 0
		.amdhsa_float_round_mode_16_64 0
		.amdhsa_float_denorm_mode_32 3
		.amdhsa_float_denorm_mode_16_64 3
		.amdhsa_fp16_overflow 0
		.amdhsa_memory_ordered 1
		.amdhsa_forward_progress 1
		.amdhsa_inst_pref_size 12
		.amdhsa_round_robin_scheduling 0
		.amdhsa_exception_fp_ieee_invalid_op 0
		.amdhsa_exception_fp_denorm_src 0
		.amdhsa_exception_fp_ieee_div_zero 0
		.amdhsa_exception_fp_ieee_overflow 0
		.amdhsa_exception_fp_ieee_underflow 0
		.amdhsa_exception_fp_ieee_inexact 0
		.amdhsa_exception_int_div_zero 0
	.end_amdhsa_kernel
	.section	.text._ZN9rocsolver6v33100L18larfg_kernel_smallILi128EfifPfEEvT1_T3_llPT2_llS4_lS3_lPT0_l,"axG",@progbits,_ZN9rocsolver6v33100L18larfg_kernel_smallILi128EfifPfEEvT1_T3_llPT2_llS4_lS3_lPT0_l,comdat
.Lfunc_end1:
	.size	_ZN9rocsolver6v33100L18larfg_kernel_smallILi128EfifPfEEvT1_T3_llPT2_llS4_lS3_lPT0_l, .Lfunc_end1-_ZN9rocsolver6v33100L18larfg_kernel_smallILi128EfifPfEEvT1_T3_llPT2_llS4_lS3_lPT0_l
                                        ; -- End function
	.set _ZN9rocsolver6v33100L18larfg_kernel_smallILi128EfifPfEEvT1_T3_llPT2_llS4_lS3_lPT0_l.num_vgpr, 16
	.set _ZN9rocsolver6v33100L18larfg_kernel_smallILi128EfifPfEEvT1_T3_llPT2_llS4_lS3_lPT0_l.num_agpr, 0
	.set _ZN9rocsolver6v33100L18larfg_kernel_smallILi128EfifPfEEvT1_T3_llPT2_llS4_lS3_lPT0_l.numbered_sgpr, 25
	.set _ZN9rocsolver6v33100L18larfg_kernel_smallILi128EfifPfEEvT1_T3_llPT2_llS4_lS3_lPT0_l.num_named_barrier, 0
	.set _ZN9rocsolver6v33100L18larfg_kernel_smallILi128EfifPfEEvT1_T3_llPT2_llS4_lS3_lPT0_l.private_seg_size, 0
	.set _ZN9rocsolver6v33100L18larfg_kernel_smallILi128EfifPfEEvT1_T3_llPT2_llS4_lS3_lPT0_l.uses_vcc, 1
	.set _ZN9rocsolver6v33100L18larfg_kernel_smallILi128EfifPfEEvT1_T3_llPT2_llS4_lS3_lPT0_l.uses_flat_scratch, 0
	.set _ZN9rocsolver6v33100L18larfg_kernel_smallILi128EfifPfEEvT1_T3_llPT2_llS4_lS3_lPT0_l.has_dyn_sized_stack, 0
	.set _ZN9rocsolver6v33100L18larfg_kernel_smallILi128EfifPfEEvT1_T3_llPT2_llS4_lS3_lPT0_l.has_recursion, 0
	.set _ZN9rocsolver6v33100L18larfg_kernel_smallILi128EfifPfEEvT1_T3_llPT2_llS4_lS3_lPT0_l.has_indirect_call, 0
	.section	.AMDGPU.csdata,"",@progbits
; Kernel info:
; codeLenInByte = 1424
; TotalNumSgprs: 27
; NumVgprs: 16
; ScratchSize: 0
; MemoryBound: 0
; FloatMode: 240
; IeeeMode: 1
; LDSByteSize: 16 bytes/workgroup (compile time only)
; SGPRBlocks: 0
; VGPRBlocks: 0
; NumSGPRsForWavesPerEU: 27
; NumVGPRsForWavesPerEU: 16
; NamedBarCnt: 0
; Occupancy: 16
; WaveLimiterHint : 1
; COMPUTE_PGM_RSRC2:SCRATCH_EN: 0
; COMPUTE_PGM_RSRC2:USER_SGPR: 2
; COMPUTE_PGM_RSRC2:TRAP_HANDLER: 0
; COMPUTE_PGM_RSRC2:TGID_X_EN: 1
; COMPUTE_PGM_RSRC2:TGID_Y_EN: 0
; COMPUTE_PGM_RSRC2:TGID_Z_EN: 1
; COMPUTE_PGM_RSRC2:TIDIG_COMP_CNT: 0
	.section	.text._ZN9rocsolver6v33100L18larfg_kernel_smallILi256EfifPfEEvT1_T3_llPT2_llS4_lS3_lPT0_l,"axG",@progbits,_ZN9rocsolver6v33100L18larfg_kernel_smallILi256EfifPfEEvT1_T3_llPT2_llS4_lS3_lPT0_l,comdat
	.globl	_ZN9rocsolver6v33100L18larfg_kernel_smallILi256EfifPfEEvT1_T3_llPT2_llS4_lS3_lPT0_l ; -- Begin function _ZN9rocsolver6v33100L18larfg_kernel_smallILi256EfifPfEEvT1_T3_llPT2_llS4_lS3_lPT0_l
	.p2align	8
	.type	_ZN9rocsolver6v33100L18larfg_kernel_smallILi256EfifPfEEvT1_T3_llPT2_llS4_lS3_lPT0_l,@function
_ZN9rocsolver6v33100L18larfg_kernel_smallILi256EfifPfEEvT1_T3_llPT2_llS4_lS3_lPT0_l: ; @_ZN9rocsolver6v33100L18larfg_kernel_smallILi256EfifPfEEvT1_T3_llPT2_llS4_lS3_lPT0_l
; %bb.0:
	s_load_b512 s[4:19], s[0:1], 0x8
	s_bfe_u32 s2, ttmp6, 0x40014
	s_lshr_b32 s3, ttmp7, 16
	s_add_co_i32 s2, s2, 1
	s_bfe_u32 s20, ttmp6, 0x40008
	s_mul_i32 s2, s3, s2
	s_getreg_b32 s21, hwreg(HW_REG_IB_STS2, 6, 4)
	s_add_co_i32 s20, s20, s2
	s_cmp_eq_u32 s21, 0
	s_mov_b32 s23, 0
	s_cselect_b32 s22, s3, s20
	s_mov_b64 s[20:21], 0
	s_wait_kmcnt 0x0
	s_cmp_eq_u64 s[10:11], 0
	s_cbranch_scc1 .LBB2_2
; %bb.1:
	s_mul_u64 s[2:3], s[14:15], s[22:23]
	s_delay_alu instid0(SALU_CYCLE_1) | instskip(NEXT) | instid1(SALU_CYCLE_1)
	s_lshl_b64 s[2:3], s[2:3], 2
	s_add_nc_u64 s[2:3], s[10:11], s[2:3]
	s_lshl_b64 s[10:11], s[12:13], 2
	s_delay_alu instid0(SALU_CYCLE_1)
	s_add_nc_u64 s[20:21], s[2:3], s[10:11]
.LBB2_2:
	s_clause 0x3
	s_load_b128 s[12:15], s[0:1], 0x50
	s_load_b32 s24, s[0:1], 0x48
	s_load_b32 s2, s[0:1], 0x0
	s_load_b64 s[10:11], s[0:1], 0x60
	v_mov_b32_e32 v2, 0
	s_wait_kmcnt 0x0
	s_mul_u64 s[0:1], s[12:13], s[22:23]
	v_mul_lo_u32 v1, v0, s24
	s_lshl_b64 s[0:1], s[0:1], 2
	s_add_co_i32 s12, s2, -1
	s_add_nc_u64 s[2:3], s[16:17], s[0:1]
	v_cmp_gt_i32_e64 s0, s12, v0
	s_lshl_b64 s[16:17], s[18:19], 2
	s_delay_alu instid0(SALU_CYCLE_1)
	s_add_nc_u64 s[2:3], s[2:3], s[16:17]
	s_and_saveexec_b32 s1, s0
	s_cbranch_execz .LBB2_6
; %bb.3:
	v_mul_lo_u32 v3, v0, s24
	v_dual_mov_b32 v2, 0 :: v_dual_mov_b32 v4, v0
	s_lshl_b32 s16, s24, 8
	s_mov_b32 s13, 0
.LBB2_4:                                ; =>This Inner Loop Header: Depth=1
	global_load_b32 v5, v3, s[2:3] scale_offset
	v_add_nc_u32_e32 v4, 0x100, v4
	s_wait_xcnt 0x0
	v_add_nc_u32_e32 v3, s16, v3
	s_delay_alu instid0(VALU_DEP_2)
	v_cmp_le_i32_e32 vcc_lo, s12, v4
	s_or_b32 s13, vcc_lo, s13
	s_wait_loadcnt 0x0
	v_fmac_f32_e32 v2, v5, v5
	s_and_not1_b32 exec_lo, exec_lo, s13
	s_cbranch_execnz .LBB2_4
; %bb.5:
	s_or_b32 exec_lo, exec_lo, s13
.LBB2_6:
	s_delay_alu instid0(SALU_CYCLE_1) | instskip(SKIP_2) | instid1(VALU_DEP_1)
	s_or_b32 exec_lo, exec_lo, s1
	v_mbcnt_lo_u32_b32 v3, -1, 0
	s_mov_b32 s1, exec_lo
	v_cmp_ne_u32_e32 vcc_lo, 31, v3
	v_add_co_ci_u32_e64 v4, null, 0, v3, vcc_lo
	v_cmp_gt_u32_e32 vcc_lo, 30, v3
	s_delay_alu instid0(VALU_DEP_2)
	v_lshlrev_b32_e32 v4, 2, v4
	v_cndmask_b32_e64 v5, 0, 2, vcc_lo
	v_cmp_gt_u32_e32 vcc_lo, 28, v3
	ds_bpermute_b32 v4, v4, v2
	v_add_lshl_u32 v5, v5, v3, 2
	s_wait_dscnt 0x0
	v_add_f32_e32 v2, v2, v4
	ds_bpermute_b32 v4, v5, v2
	v_cndmask_b32_e64 v5, 0, 4, vcc_lo
	v_cmp_gt_u32_e32 vcc_lo, 24, v3
	s_delay_alu instid0(VALU_DEP_2) | instskip(SKIP_4) | instid1(VALU_DEP_1)
	v_add_lshl_u32 v5, v5, v3, 2
	s_wait_dscnt 0x0
	v_add_f32_e32 v2, v2, v4
	ds_bpermute_b32 v4, v5, v2
	v_cndmask_b32_e64 v5, 0, 8, vcc_lo
	v_add_lshl_u32 v5, v5, v3, 2
	v_lshl_or_b32 v3, v3, 2, 64
	s_wait_dscnt 0x0
	v_add_f32_e32 v2, v2, v4
	ds_bpermute_b32 v4, v5, v2
	s_wait_dscnt 0x0
	v_add_f32_e32 v2, v2, v4
	v_and_b32_e32 v4, 31, v0
	ds_bpermute_b32 v3, v3, v2
	s_wait_dscnt 0x0
	v_add_f32_e32 v2, v2, v3
	v_cmpx_eq_u32_e32 0, v4
; %bb.7:
	v_lshrrev_b32_e32 v3, 3, v0
	ds_store_b32 v3, v2
; %bb.8:
	s_or_b32 exec_lo, exec_lo, s1
	v_cmp_eq_u32_e32 vcc_lo, 0, v0
	s_wait_dscnt 0x0
	s_barrier_signal -1
	s_barrier_wait -1
	s_and_saveexec_b32 s1, vcc_lo
	s_cbranch_execz .LBB2_10
; %bb.9:
	v_mov_b32_e32 v3, 0
	ds_load_2addr_b32 v[4:5], v3 offset0:1 offset1:2
	ds_load_2addr_b32 v[6:7], v3 offset0:3 offset1:4
	;; [unrolled: 1-line block ×3, first 2 shown]
	ds_load_b32 v10, v3 offset:28
	s_wait_dscnt 0x3
	v_add_f32_e32 v2, v2, v4
	s_delay_alu instid0(VALU_DEP_1) | instskip(SKIP_1) | instid1(VALU_DEP_1)
	v_add_f32_e32 v2, v2, v5
	s_wait_dscnt 0x2
	v_add_f32_e32 v2, v2, v6
	s_delay_alu instid0(VALU_DEP_1) | instskip(SKIP_1) | instid1(VALU_DEP_1)
	v_add_f32_e32 v2, v2, v7
	;; [unrolled: 4-line block ×3, first 2 shown]
	s_wait_dscnt 0x0
	v_add_f32_e32 v2, v2, v10
	ds_store_b32 v3, v2
.LBB2_10:
	s_or_b32 exec_lo, exec_lo, s1
	s_wait_dscnt 0x0
	s_barrier_signal -1
	s_barrier_wait -1
	s_and_saveexec_b32 s13, vcc_lo
	s_cbranch_execz .LBB2_20
; %bb.11:
	v_mov_b32_e32 v2, 0
	s_mul_u64 s[8:9], s[8:9], s[22:23]
	s_lshl_b64 s[6:7], s[6:7], 2
	s_lshl_b64 s[8:9], s[8:9], 2
	s_delay_alu instid0(SALU_CYCLE_1)
	s_add_nc_u64 s[4:5], s[4:5], s[8:9]
	ds_load_b32 v3, v2
	s_mul_u64 s[8:9], s[10:11], s[22:23]
	s_add_nc_u64 s[4:5], s[4:5], s[6:7]
	s_lshl_b64 s[8:9], s[8:9], 2
	s_cmp_eq_u64 s[20:21], 0
	s_add_nc_u64 s[6:7], s[14:15], s[8:9]
	s_cselect_b32 s8, -1, 0
	s_cmp_lg_u64 s[20:21], 0
	s_mov_b32 s10, 0
	s_cselect_b32 s9, -1, 0
	s_wait_dscnt 0x0
	v_cmp_nlt_f32_e32 vcc_lo, 0, v3
	v_readfirstlane_b32 s1, v3
	s_cbranch_vccz .LBB2_14
; %bb.12:
	v_mov_b32_e32 v3, 1.0
	s_mov_b32 s14, 0
	s_and_b32 vcc_lo, exec_lo, s9
	global_store_b32 v2, v2, s[6:7]
	ds_store_b32 v2, v3
	s_cbranch_vccz .LBB2_15
; %bb.13:
	s_wait_xcnt 0x0
	v_mov_b32_e32 v2, 0
	s_mov_b32 s11, -1
	global_load_b32 v2, v2, s[4:5]
	s_and_b32 vcc_lo, exec_lo, s14
	s_cbranch_vccnz .LBB2_16
	s_branch .LBB2_17
.LBB2_14:
	s_mov_b32 s14, -1
.LBB2_15:
	s_mov_b32 s11, 0
                                        ; implicit-def: $vgpr2
	s_and_b32 vcc_lo, exec_lo, s14
	s_cbranch_vccz .LBB2_17
.LBB2_16:
	v_mov_b32_e32 v3, 0
	global_load_b32 v4, v3, s[4:5]
	s_wait_loadcnt 0x0
	v_readfirstlane_b32 s10, v4
	v_cmp_le_f32_e32 vcc_lo, 0, v4
	s_fmac_f32 s1, s10, s10
	s_delay_alu instid0(SALU_CYCLE_3) | instskip(SKIP_1) | instid1(SALU_CYCLE_2)
	s_mul_f32 s10, s1, 0x4f800000
	s_cmp_lt_f32 s1, 0xf800000
	s_cselect_b32 s10, s10, s1
	s_delay_alu instid0(SALU_CYCLE_1) | instskip(SKIP_1) | instid1(TRANS32_DEP_1)
	v_s_sqrt_f32 s11, s10
	s_mov_b32 s15, s10
	s_add_co_i32 s14, s11, -1
	s_delay_alu instid0(SALU_CYCLE_1) | instskip(NEXT) | instid1(SALU_CYCLE_1)
	s_xor_b32 s16, s14, 0x80000000
	s_fmac_f32 s15, s16, s11
	s_mov_b32 s16, s10
	s_delay_alu instid0(SALU_CYCLE_2) | instskip(SKIP_2) | instid1(SALU_CYCLE_1)
	s_cmp_le_f32 s15, 0
	s_cselect_b32 s14, s14, s11
	s_add_co_i32 s15, s11, 1
	s_xor_b32 s17, s15, 0x80000000
	s_delay_alu instid0(SALU_CYCLE_1) | instskip(SKIP_1) | instid1(SALU_CYCLE_2)
	s_fmac_f32 s16, s17, s11
	v_cmp_class_f32_e64 s11, s10, 0x260
	s_cmp_gt_f32 s16, 0
	s_cselect_b32 s14, s15, s14
	s_cmp_lt_f32 s1, 0xf800000
	s_mul_f32 s1, s14, 0x37800000
	s_delay_alu instid0(SALU_CYCLE_3)
	s_cselect_b32 s1, s1, s14
	s_and_b32 s11, s11, exec_lo
	s_cselect_b32 s1, s10, s1
	s_mov_b32 s11, s9
	s_xor_b32 s10, s1, 0x80000000
	s_wait_xcnt 0x1
	v_mov_b32_e32 v2, s10
	s_mov_b32 s10, s8
	s_delay_alu instid0(VALU_DEP_1) | instskip(NEXT) | instid1(VALU_DEP_1)
	v_cndmask_b32_e32 v2, s1, v2, vcc_lo
	v_sub_f32_e32 v5, v4, v2
	s_delay_alu instid0(VALU_DEP_1) | instskip(NEXT) | instid1(VALU_DEP_1)
	v_div_scale_f32 v6, null, v5, v5, 1.0
	v_rcp_f32_e32 v8, v6
	v_nop
	v_xor_b32_e32 v6, 0x80000000, v6
	s_delay_alu instid0(TRANS32_DEP_1) | instid1(VALU_DEP_1)
	v_fma_f32 v10, v6, v8, 1.0
	s_delay_alu instid0(VALU_DEP_1) | instskip(SKIP_2) | instid1(VALU_DEP_2)
	v_fmac_f32_e32 v8, v10, v8
	v_sub_f32_e32 v4, v2, v4
	v_div_scale_f32 v12, vcc_lo, 1.0, v5, 1.0
	v_div_scale_f32 v7, null, v2, v2, v4
	v_div_scale_f32 v10, s1, v4, v2, v4
	s_delay_alu instid0(VALU_DEP_2)
	v_rcp_f32_e32 v9, v7
	v_nop
	v_xor_b32_e32 v7, 0x80000000, v7
	s_delay_alu instid0(TRANS32_DEP_1) | instid1(VALU_DEP_1)
	v_fma_f32 v11, v7, v9, 1.0
	s_delay_alu instid0(VALU_DEP_1) | instskip(NEXT) | instid1(VALU_DEP_1)
	v_dual_fmac_f32 v9, v11, v9 :: v_dual_mul_f32 v11, v12, v8
	v_mul_f32_e32 v13, v10, v9
	s_delay_alu instid0(VALU_DEP_1) | instskip(NEXT) | instid1(VALU_DEP_1)
	v_dual_fma_f32 v14, v6, v11, v12 :: v_dual_fma_f32 v15, v7, v13, v10
	v_dual_fmac_f32 v11, v14, v8 :: v_dual_fmac_f32 v13, v15, v9
	s_delay_alu instid0(VALU_DEP_1) | instskip(NEXT) | instid1(VALU_DEP_1)
	v_dual_fmac_f32 v12, v6, v11 :: v_dual_fmac_f32 v10, v7, v13
	v_div_fmas_f32 v6, v12, v8, v11
	s_mov_b32 vcc_lo, s1
	s_delay_alu instid0(VALU_DEP_2) | instskip(NEXT) | instid1(VALU_DEP_2)
	v_div_fmas_f32 v7, v10, v9, v13
	v_div_fixup_f32 v5, v6, v5, 1.0
	s_delay_alu instid0(VALU_DEP_2)
	v_div_fixup_f32 v4, v7, v2, v4
	ds_store_b32 v3, v5
	global_store_b32 v3, v4, s[6:7]
.LBB2_17:
	s_and_not1_b32 vcc_lo, exec_lo, s11
	s_cbranch_vccz .LBB2_24
; %bb.18:
	s_and_not1_b32 vcc_lo, exec_lo, s10
	s_cbranch_vccnz .LBB2_20
.LBB2_19:
	s_wait_xcnt 0x0
	v_mov_b32_e32 v3, 0
	s_wait_loadcnt 0x0
	global_store_b32 v3, v2, s[4:5]
.LBB2_20:
	s_wait_xcnt 0x0
	s_or_b32 exec_lo, exec_lo, s13
	s_wait_storecnt 0x0
	s_wait_loadcnt_dscnt 0x0
	s_barrier_signal -1
	s_barrier_wait -1
	s_and_saveexec_b32 s1, s0
	s_cbranch_execz .LBB2_23
; %bb.21:
	v_mov_b32_e32 v2, 0
	s_lshl_b32 s0, s24, 8
	s_mov_b32 s1, 0
	ds_load_b32 v2, v2
.LBB2_22:                               ; =>This Inner Loop Header: Depth=1
	global_load_b32 v3, v1, s[2:3] scale_offset
	s_wait_loadcnt_dscnt 0x0
	v_dual_mul_f32 v3, v2, v3 :: v_dual_add_nc_u32 v0, 0x100, v0
	s_delay_alu instid0(VALU_DEP_1) | instskip(SKIP_4) | instid1(SALU_CYCLE_1)
	v_cmp_le_i32_e32 vcc_lo, s12, v0
	global_store_b32 v1, v3, s[2:3] scale_offset
	s_wait_xcnt 0x0
	v_add_nc_u32_e32 v1, s0, v1
	s_or_b32 s1, vcc_lo, s1
	s_and_not1_b32 exec_lo, exec_lo, s1
	s_cbranch_execnz .LBB2_22
.LBB2_23:
	s_endpgm
.LBB2_24:
	s_wait_xcnt 0x0
	v_mov_b32_e32 v3, 0
	s_wait_loadcnt 0x0
	global_store_b32 v3, v2, s[20:21]
	s_wait_xcnt 0x0
	v_mov_b32_e32 v2, 1.0
	s_branch .LBB2_19
	.section	.rodata,"a",@progbits
	.p2align	6, 0x0
	.amdhsa_kernel _ZN9rocsolver6v33100L18larfg_kernel_smallILi256EfifPfEEvT1_T3_llPT2_llS4_lS3_lPT0_l
		.amdhsa_group_segment_fixed_size 32
		.amdhsa_private_segment_fixed_size 0
		.amdhsa_kernarg_size 104
		.amdhsa_user_sgpr_count 2
		.amdhsa_user_sgpr_dispatch_ptr 0
		.amdhsa_user_sgpr_queue_ptr 0
		.amdhsa_user_sgpr_kernarg_segment_ptr 1
		.amdhsa_user_sgpr_dispatch_id 0
		.amdhsa_user_sgpr_kernarg_preload_length 0
		.amdhsa_user_sgpr_kernarg_preload_offset 0
		.amdhsa_user_sgpr_private_segment_size 0
		.amdhsa_wavefront_size32 1
		.amdhsa_uses_dynamic_stack 0
		.amdhsa_enable_private_segment 0
		.amdhsa_system_sgpr_workgroup_id_x 1
		.amdhsa_system_sgpr_workgroup_id_y 0
		.amdhsa_system_sgpr_workgroup_id_z 1
		.amdhsa_system_sgpr_workgroup_info 0
		.amdhsa_system_vgpr_workitem_id 0
		.amdhsa_next_free_vgpr 16
		.amdhsa_next_free_sgpr 25
		.amdhsa_named_barrier_count 0
		.amdhsa_reserve_vcc 1
		.amdhsa_float_round_mode_32 0
		.amdhsa_float_round_mode_16_64 0
		.amdhsa_float_denorm_mode_32 3
		.amdhsa_float_denorm_mode_16_64 3
		.amdhsa_fp16_overflow 0
		.amdhsa_memory_ordered 1
		.amdhsa_forward_progress 1
		.amdhsa_inst_pref_size 12
		.amdhsa_round_robin_scheduling 0
		.amdhsa_exception_fp_ieee_invalid_op 0
		.amdhsa_exception_fp_denorm_src 0
		.amdhsa_exception_fp_ieee_div_zero 0
		.amdhsa_exception_fp_ieee_overflow 0
		.amdhsa_exception_fp_ieee_underflow 0
		.amdhsa_exception_fp_ieee_inexact 0
		.amdhsa_exception_int_div_zero 0
	.end_amdhsa_kernel
	.section	.text._ZN9rocsolver6v33100L18larfg_kernel_smallILi256EfifPfEEvT1_T3_llPT2_llS4_lS3_lPT0_l,"axG",@progbits,_ZN9rocsolver6v33100L18larfg_kernel_smallILi256EfifPfEEvT1_T3_llPT2_llS4_lS3_lPT0_l,comdat
.Lfunc_end2:
	.size	_ZN9rocsolver6v33100L18larfg_kernel_smallILi256EfifPfEEvT1_T3_llPT2_llS4_lS3_lPT0_l, .Lfunc_end2-_ZN9rocsolver6v33100L18larfg_kernel_smallILi256EfifPfEEvT1_T3_llPT2_llS4_lS3_lPT0_l
                                        ; -- End function
	.set _ZN9rocsolver6v33100L18larfg_kernel_smallILi256EfifPfEEvT1_T3_llPT2_llS4_lS3_lPT0_l.num_vgpr, 16
	.set _ZN9rocsolver6v33100L18larfg_kernel_smallILi256EfifPfEEvT1_T3_llPT2_llS4_lS3_lPT0_l.num_agpr, 0
	.set _ZN9rocsolver6v33100L18larfg_kernel_smallILi256EfifPfEEvT1_T3_llPT2_llS4_lS3_lPT0_l.numbered_sgpr, 25
	.set _ZN9rocsolver6v33100L18larfg_kernel_smallILi256EfifPfEEvT1_T3_llPT2_llS4_lS3_lPT0_l.num_named_barrier, 0
	.set _ZN9rocsolver6v33100L18larfg_kernel_smallILi256EfifPfEEvT1_T3_llPT2_llS4_lS3_lPT0_l.private_seg_size, 0
	.set _ZN9rocsolver6v33100L18larfg_kernel_smallILi256EfifPfEEvT1_T3_llPT2_llS4_lS3_lPT0_l.uses_vcc, 1
	.set _ZN9rocsolver6v33100L18larfg_kernel_smallILi256EfifPfEEvT1_T3_llPT2_llS4_lS3_lPT0_l.uses_flat_scratch, 0
	.set _ZN9rocsolver6v33100L18larfg_kernel_smallILi256EfifPfEEvT1_T3_llPT2_llS4_lS3_lPT0_l.has_dyn_sized_stack, 0
	.set _ZN9rocsolver6v33100L18larfg_kernel_smallILi256EfifPfEEvT1_T3_llPT2_llS4_lS3_lPT0_l.has_recursion, 0
	.set _ZN9rocsolver6v33100L18larfg_kernel_smallILi256EfifPfEEvT1_T3_llPT2_llS4_lS3_lPT0_l.has_indirect_call, 0
	.section	.AMDGPU.csdata,"",@progbits
; Kernel info:
; codeLenInByte = 1472
; TotalNumSgprs: 27
; NumVgprs: 16
; ScratchSize: 0
; MemoryBound: 0
; FloatMode: 240
; IeeeMode: 1
; LDSByteSize: 32 bytes/workgroup (compile time only)
; SGPRBlocks: 0
; VGPRBlocks: 0
; NumSGPRsForWavesPerEU: 27
; NumVGPRsForWavesPerEU: 16
; NamedBarCnt: 0
; Occupancy: 16
; WaveLimiterHint : 1
; COMPUTE_PGM_RSRC2:SCRATCH_EN: 0
; COMPUTE_PGM_RSRC2:USER_SGPR: 2
; COMPUTE_PGM_RSRC2:TRAP_HANDLER: 0
; COMPUTE_PGM_RSRC2:TGID_X_EN: 1
; COMPUTE_PGM_RSRC2:TGID_Y_EN: 0
; COMPUTE_PGM_RSRC2:TGID_Z_EN: 1
; COMPUTE_PGM_RSRC2:TIDIG_COMP_CNT: 0
	.section	.text._ZN9rocsolver6v33100L18larfg_kernel_smallILi512EfifPfEEvT1_T3_llPT2_llS4_lS3_lPT0_l,"axG",@progbits,_ZN9rocsolver6v33100L18larfg_kernel_smallILi512EfifPfEEvT1_T3_llPT2_llS4_lS3_lPT0_l,comdat
	.globl	_ZN9rocsolver6v33100L18larfg_kernel_smallILi512EfifPfEEvT1_T3_llPT2_llS4_lS3_lPT0_l ; -- Begin function _ZN9rocsolver6v33100L18larfg_kernel_smallILi512EfifPfEEvT1_T3_llPT2_llS4_lS3_lPT0_l
	.p2align	8
	.type	_ZN9rocsolver6v33100L18larfg_kernel_smallILi512EfifPfEEvT1_T3_llPT2_llS4_lS3_lPT0_l,@function
_ZN9rocsolver6v33100L18larfg_kernel_smallILi512EfifPfEEvT1_T3_llPT2_llS4_lS3_lPT0_l: ; @_ZN9rocsolver6v33100L18larfg_kernel_smallILi512EfifPfEEvT1_T3_llPT2_llS4_lS3_lPT0_l
; %bb.0:
	s_load_b512 s[4:19], s[0:1], 0x8
	s_bfe_u32 s2, ttmp6, 0x40014
	s_lshr_b32 s3, ttmp7, 16
	s_add_co_i32 s2, s2, 1
	s_bfe_u32 s20, ttmp6, 0x40008
	s_mul_i32 s2, s3, s2
	s_getreg_b32 s21, hwreg(HW_REG_IB_STS2, 6, 4)
	s_add_co_i32 s20, s20, s2
	s_cmp_eq_u32 s21, 0
	s_mov_b32 s23, 0
	s_cselect_b32 s22, s3, s20
	s_mov_b64 s[20:21], 0
	s_wait_kmcnt 0x0
	s_cmp_eq_u64 s[10:11], 0
	s_cbranch_scc1 .LBB3_2
; %bb.1:
	s_mul_u64 s[2:3], s[14:15], s[22:23]
	s_delay_alu instid0(SALU_CYCLE_1) | instskip(NEXT) | instid1(SALU_CYCLE_1)
	s_lshl_b64 s[2:3], s[2:3], 2
	s_add_nc_u64 s[2:3], s[10:11], s[2:3]
	s_lshl_b64 s[10:11], s[12:13], 2
	s_delay_alu instid0(SALU_CYCLE_1)
	s_add_nc_u64 s[20:21], s[2:3], s[10:11]
.LBB3_2:
	s_clause 0x3
	s_load_b128 s[12:15], s[0:1], 0x50
	s_load_b32 s24, s[0:1], 0x48
	s_load_b32 s2, s[0:1], 0x0
	s_load_b64 s[10:11], s[0:1], 0x60
	v_mov_b32_e32 v2, 0
	s_wait_kmcnt 0x0
	s_mul_u64 s[0:1], s[12:13], s[22:23]
	v_mul_lo_u32 v1, v0, s24
	s_lshl_b64 s[0:1], s[0:1], 2
	s_add_co_i32 s12, s2, -1
	s_add_nc_u64 s[2:3], s[16:17], s[0:1]
	v_cmp_gt_i32_e64 s0, s12, v0
	s_lshl_b64 s[16:17], s[18:19], 2
	s_delay_alu instid0(SALU_CYCLE_1)
	s_add_nc_u64 s[2:3], s[2:3], s[16:17]
	s_and_saveexec_b32 s1, s0
	s_cbranch_execz .LBB3_6
; %bb.3:
	v_mul_lo_u32 v3, v0, s24
	v_dual_mov_b32 v2, 0 :: v_dual_mov_b32 v4, v0
	s_lshl_b32 s16, s24, 9
	s_mov_b32 s13, 0
.LBB3_4:                                ; =>This Inner Loop Header: Depth=1
	global_load_b32 v5, v3, s[2:3] scale_offset
	v_add_nc_u32_e32 v4, 0x200, v4
	s_wait_xcnt 0x0
	v_add_nc_u32_e32 v3, s16, v3
	s_delay_alu instid0(VALU_DEP_2)
	v_cmp_le_i32_e32 vcc_lo, s12, v4
	s_or_b32 s13, vcc_lo, s13
	s_wait_loadcnt 0x0
	v_fmac_f32_e32 v2, v5, v5
	s_and_not1_b32 exec_lo, exec_lo, s13
	s_cbranch_execnz .LBB3_4
; %bb.5:
	s_or_b32 exec_lo, exec_lo, s13
.LBB3_6:
	s_delay_alu instid0(SALU_CYCLE_1) | instskip(SKIP_2) | instid1(VALU_DEP_1)
	s_or_b32 exec_lo, exec_lo, s1
	v_mbcnt_lo_u32_b32 v3, -1, 0
	s_mov_b32 s1, exec_lo
	v_cmp_ne_u32_e32 vcc_lo, 31, v3
	v_add_co_ci_u32_e64 v4, null, 0, v3, vcc_lo
	v_cmp_gt_u32_e32 vcc_lo, 30, v3
	s_delay_alu instid0(VALU_DEP_2)
	v_lshlrev_b32_e32 v4, 2, v4
	v_cndmask_b32_e64 v5, 0, 2, vcc_lo
	v_cmp_gt_u32_e32 vcc_lo, 28, v3
	ds_bpermute_b32 v4, v4, v2
	v_add_lshl_u32 v5, v5, v3, 2
	s_wait_dscnt 0x0
	v_add_f32_e32 v2, v2, v4
	ds_bpermute_b32 v4, v5, v2
	v_cndmask_b32_e64 v5, 0, 4, vcc_lo
	v_cmp_gt_u32_e32 vcc_lo, 24, v3
	s_delay_alu instid0(VALU_DEP_2) | instskip(SKIP_4) | instid1(VALU_DEP_1)
	v_add_lshl_u32 v5, v5, v3, 2
	s_wait_dscnt 0x0
	v_add_f32_e32 v2, v2, v4
	ds_bpermute_b32 v4, v5, v2
	v_cndmask_b32_e64 v5, 0, 8, vcc_lo
	v_add_lshl_u32 v5, v5, v3, 2
	v_lshl_or_b32 v3, v3, 2, 64
	s_wait_dscnt 0x0
	v_add_f32_e32 v2, v2, v4
	ds_bpermute_b32 v4, v5, v2
	s_wait_dscnt 0x0
	v_add_f32_e32 v2, v2, v4
	v_and_b32_e32 v4, 31, v0
	ds_bpermute_b32 v3, v3, v2
	s_wait_dscnt 0x0
	v_add_f32_e32 v2, v2, v3
	v_cmpx_eq_u32_e32 0, v4
; %bb.7:
	v_lshrrev_b32_e32 v3, 3, v0
	ds_store_b32 v3, v2
; %bb.8:
	s_or_b32 exec_lo, exec_lo, s1
	v_cmp_eq_u32_e32 vcc_lo, 0, v0
	s_wait_dscnt 0x0
	s_barrier_signal -1
	s_barrier_wait -1
	s_and_saveexec_b32 s1, vcc_lo
	s_cbranch_execz .LBB3_10
; %bb.9:
	v_mov_b32_e32 v12, 0
	ds_load_2addr_b32 v[4:5], v12 offset0:1 offset1:2
	ds_load_2addr_b32 v[6:7], v12 offset0:3 offset1:4
	ds_load_2addr_b32 v[8:9], v12 offset0:5 offset1:6
	ds_load_2addr_b32 v[10:11], v12 offset0:7 offset1:8
	s_wait_dscnt 0x3
	v_add_f32_e32 v2, v2, v4
	s_delay_alu instid0(VALU_DEP_1) | instskip(SKIP_1) | instid1(VALU_DEP_1)
	v_add_f32_e32 v2, v2, v5
	s_wait_dscnt 0x2
	v_add_f32_e32 v2, v2, v6
	s_delay_alu instid0(VALU_DEP_1) | instskip(SKIP_1) | instid1(VALU_DEP_1)
	v_add_f32_e32 v2, v2, v7
	s_wait_dscnt 0x1
	v_add_f32_e32 v4, v2, v8
	ds_load_2addr_b32 v[2:3], v12 offset0:9 offset1:10
	v_add_f32_e32 v4, v4, v9
	s_wait_dscnt 0x1
	s_delay_alu instid0(VALU_DEP_1)
	v_add_f32_e32 v6, v4, v10
	ds_load_2addr_b32 v[4:5], v12 offset0:11 offset1:12
	v_add_f32_e32 v8, v6, v11
	ds_load_2addr_b32 v[6:7], v12 offset0:13 offset1:14
	ds_load_b32 v9, v12 offset:60
	s_wait_dscnt 0x3
	v_add_f32_e32 v2, v8, v2
	s_delay_alu instid0(VALU_DEP_1) | instskip(SKIP_1) | instid1(VALU_DEP_1)
	v_add_f32_e32 v2, v2, v3
	s_wait_dscnt 0x2
	v_add_f32_e32 v2, v2, v4
	s_delay_alu instid0(VALU_DEP_1) | instskip(SKIP_1) | instid1(VALU_DEP_1)
	v_add_f32_e32 v2, v2, v5
	;; [unrolled: 4-line block ×3, first 2 shown]
	s_wait_dscnt 0x0
	v_add_f32_e32 v2, v2, v9
	ds_store_b32 v12, v2
.LBB3_10:
	s_or_b32 exec_lo, exec_lo, s1
	s_wait_dscnt 0x0
	s_barrier_signal -1
	s_barrier_wait -1
	s_and_saveexec_b32 s13, vcc_lo
	s_cbranch_execz .LBB3_20
; %bb.11:
	v_mov_b32_e32 v2, 0
	s_mul_u64 s[8:9], s[8:9], s[22:23]
	s_lshl_b64 s[6:7], s[6:7], 2
	s_lshl_b64 s[8:9], s[8:9], 2
	s_delay_alu instid0(SALU_CYCLE_1)
	s_add_nc_u64 s[4:5], s[4:5], s[8:9]
	ds_load_b32 v3, v2
	s_mul_u64 s[8:9], s[10:11], s[22:23]
	s_add_nc_u64 s[4:5], s[4:5], s[6:7]
	s_lshl_b64 s[8:9], s[8:9], 2
	s_cmp_eq_u64 s[20:21], 0
	s_add_nc_u64 s[6:7], s[14:15], s[8:9]
	s_cselect_b32 s8, -1, 0
	s_cmp_lg_u64 s[20:21], 0
	s_mov_b32 s10, 0
	s_cselect_b32 s9, -1, 0
	s_wait_dscnt 0x0
	v_cmp_nlt_f32_e32 vcc_lo, 0, v3
	v_readfirstlane_b32 s1, v3
	s_cbranch_vccz .LBB3_14
; %bb.12:
	v_mov_b32_e32 v3, 1.0
	s_mov_b32 s14, 0
	s_and_b32 vcc_lo, exec_lo, s9
	global_store_b32 v2, v2, s[6:7]
	ds_store_b32 v2, v3
	s_cbranch_vccz .LBB3_15
; %bb.13:
	s_wait_xcnt 0x0
	v_mov_b32_e32 v2, 0
	s_mov_b32 s11, -1
	global_load_b32 v2, v2, s[4:5]
	s_and_b32 vcc_lo, exec_lo, s14
	s_cbranch_vccnz .LBB3_16
	s_branch .LBB3_17
.LBB3_14:
	s_mov_b32 s14, -1
.LBB3_15:
	s_mov_b32 s11, 0
                                        ; implicit-def: $vgpr2
	s_and_b32 vcc_lo, exec_lo, s14
	s_cbranch_vccz .LBB3_17
.LBB3_16:
	v_mov_b32_e32 v3, 0
	global_load_b32 v4, v3, s[4:5]
	s_wait_loadcnt 0x0
	v_readfirstlane_b32 s10, v4
	v_cmp_le_f32_e32 vcc_lo, 0, v4
	s_fmac_f32 s1, s10, s10
	s_delay_alu instid0(SALU_CYCLE_3) | instskip(SKIP_1) | instid1(SALU_CYCLE_2)
	s_mul_f32 s10, s1, 0x4f800000
	s_cmp_lt_f32 s1, 0xf800000
	s_cselect_b32 s10, s10, s1
	s_delay_alu instid0(SALU_CYCLE_1) | instskip(SKIP_1) | instid1(TRANS32_DEP_1)
	v_s_sqrt_f32 s11, s10
	s_mov_b32 s15, s10
	s_add_co_i32 s14, s11, -1
	s_delay_alu instid0(SALU_CYCLE_1) | instskip(NEXT) | instid1(SALU_CYCLE_1)
	s_xor_b32 s16, s14, 0x80000000
	s_fmac_f32 s15, s16, s11
	s_mov_b32 s16, s10
	s_delay_alu instid0(SALU_CYCLE_2) | instskip(SKIP_2) | instid1(SALU_CYCLE_1)
	s_cmp_le_f32 s15, 0
	s_cselect_b32 s14, s14, s11
	s_add_co_i32 s15, s11, 1
	s_xor_b32 s17, s15, 0x80000000
	s_delay_alu instid0(SALU_CYCLE_1) | instskip(SKIP_1) | instid1(SALU_CYCLE_2)
	s_fmac_f32 s16, s17, s11
	v_cmp_class_f32_e64 s11, s10, 0x260
	s_cmp_gt_f32 s16, 0
	s_cselect_b32 s14, s15, s14
	s_cmp_lt_f32 s1, 0xf800000
	s_mul_f32 s1, s14, 0x37800000
	s_delay_alu instid0(SALU_CYCLE_3)
	s_cselect_b32 s1, s1, s14
	s_and_b32 s11, s11, exec_lo
	s_cselect_b32 s1, s10, s1
	s_mov_b32 s11, s9
	s_xor_b32 s10, s1, 0x80000000
	s_wait_xcnt 0x1
	v_mov_b32_e32 v2, s10
	s_mov_b32 s10, s8
	s_delay_alu instid0(VALU_DEP_1) | instskip(NEXT) | instid1(VALU_DEP_1)
	v_cndmask_b32_e32 v2, s1, v2, vcc_lo
	v_sub_f32_e32 v5, v4, v2
	s_delay_alu instid0(VALU_DEP_1) | instskip(NEXT) | instid1(VALU_DEP_1)
	v_div_scale_f32 v6, null, v5, v5, 1.0
	v_rcp_f32_e32 v8, v6
	v_nop
	v_xor_b32_e32 v6, 0x80000000, v6
	s_delay_alu instid0(TRANS32_DEP_1) | instid1(VALU_DEP_1)
	v_fma_f32 v10, v6, v8, 1.0
	s_delay_alu instid0(VALU_DEP_1) | instskip(SKIP_2) | instid1(VALU_DEP_2)
	v_fmac_f32_e32 v8, v10, v8
	v_sub_f32_e32 v4, v2, v4
	v_div_scale_f32 v12, vcc_lo, 1.0, v5, 1.0
	v_div_scale_f32 v7, null, v2, v2, v4
	v_div_scale_f32 v10, s1, v4, v2, v4
	s_delay_alu instid0(VALU_DEP_2)
	v_rcp_f32_e32 v9, v7
	v_nop
	v_xor_b32_e32 v7, 0x80000000, v7
	s_delay_alu instid0(TRANS32_DEP_1) | instid1(VALU_DEP_1)
	v_fma_f32 v11, v7, v9, 1.0
	s_delay_alu instid0(VALU_DEP_1) | instskip(NEXT) | instid1(VALU_DEP_1)
	v_dual_fmac_f32 v9, v11, v9 :: v_dual_mul_f32 v11, v12, v8
	v_mul_f32_e32 v13, v10, v9
	s_delay_alu instid0(VALU_DEP_1) | instskip(NEXT) | instid1(VALU_DEP_1)
	v_dual_fma_f32 v14, v6, v11, v12 :: v_dual_fma_f32 v15, v7, v13, v10
	v_dual_fmac_f32 v11, v14, v8 :: v_dual_fmac_f32 v13, v15, v9
	s_delay_alu instid0(VALU_DEP_1) | instskip(NEXT) | instid1(VALU_DEP_1)
	v_dual_fmac_f32 v12, v6, v11 :: v_dual_fmac_f32 v10, v7, v13
	v_div_fmas_f32 v6, v12, v8, v11
	s_mov_b32 vcc_lo, s1
	s_delay_alu instid0(VALU_DEP_2) | instskip(NEXT) | instid1(VALU_DEP_2)
	v_div_fmas_f32 v7, v10, v9, v13
	v_div_fixup_f32 v5, v6, v5, 1.0
	s_delay_alu instid0(VALU_DEP_2)
	v_div_fixup_f32 v4, v7, v2, v4
	ds_store_b32 v3, v5
	global_store_b32 v3, v4, s[6:7]
.LBB3_17:
	s_and_not1_b32 vcc_lo, exec_lo, s11
	s_cbranch_vccz .LBB3_24
; %bb.18:
	s_and_not1_b32 vcc_lo, exec_lo, s10
	s_cbranch_vccnz .LBB3_20
.LBB3_19:
	s_wait_xcnt 0x0
	v_mov_b32_e32 v3, 0
	s_wait_loadcnt 0x0
	global_store_b32 v3, v2, s[4:5]
.LBB3_20:
	s_wait_xcnt 0x0
	s_or_b32 exec_lo, exec_lo, s13
	s_wait_storecnt 0x0
	s_wait_loadcnt_dscnt 0x0
	s_barrier_signal -1
	s_barrier_wait -1
	s_and_saveexec_b32 s1, s0
	s_cbranch_execz .LBB3_23
; %bb.21:
	v_mov_b32_e32 v2, 0
	s_lshl_b32 s0, s24, 9
	s_mov_b32 s1, 0
	ds_load_b32 v2, v2
.LBB3_22:                               ; =>This Inner Loop Header: Depth=1
	global_load_b32 v3, v1, s[2:3] scale_offset
	s_wait_loadcnt_dscnt 0x0
	v_dual_mul_f32 v3, v2, v3 :: v_dual_add_nc_u32 v0, 0x200, v0
	s_delay_alu instid0(VALU_DEP_1) | instskip(SKIP_4) | instid1(SALU_CYCLE_1)
	v_cmp_le_i32_e32 vcc_lo, s12, v0
	global_store_b32 v1, v3, s[2:3] scale_offset
	s_wait_xcnt 0x0
	v_add_nc_u32_e32 v1, s0, v1
	s_or_b32 s1, vcc_lo, s1
	s_and_not1_b32 exec_lo, exec_lo, s1
	s_cbranch_execnz .LBB3_22
.LBB3_23:
	s_endpgm
.LBB3_24:
	s_wait_xcnt 0x0
	v_mov_b32_e32 v3, 0
	s_wait_loadcnt 0x0
	global_store_b32 v3, v2, s[20:21]
	s_wait_xcnt 0x0
	v_mov_b32_e32 v2, 1.0
	s_branch .LBB3_19
	.section	.rodata,"a",@progbits
	.p2align	6, 0x0
	.amdhsa_kernel _ZN9rocsolver6v33100L18larfg_kernel_smallILi512EfifPfEEvT1_T3_llPT2_llS4_lS3_lPT0_l
		.amdhsa_group_segment_fixed_size 64
		.amdhsa_private_segment_fixed_size 0
		.amdhsa_kernarg_size 104
		.amdhsa_user_sgpr_count 2
		.amdhsa_user_sgpr_dispatch_ptr 0
		.amdhsa_user_sgpr_queue_ptr 0
		.amdhsa_user_sgpr_kernarg_segment_ptr 1
		.amdhsa_user_sgpr_dispatch_id 0
		.amdhsa_user_sgpr_kernarg_preload_length 0
		.amdhsa_user_sgpr_kernarg_preload_offset 0
		.amdhsa_user_sgpr_private_segment_size 0
		.amdhsa_wavefront_size32 1
		.amdhsa_uses_dynamic_stack 0
		.amdhsa_enable_private_segment 0
		.amdhsa_system_sgpr_workgroup_id_x 1
		.amdhsa_system_sgpr_workgroup_id_y 0
		.amdhsa_system_sgpr_workgroup_id_z 1
		.amdhsa_system_sgpr_workgroup_info 0
		.amdhsa_system_vgpr_workitem_id 0
		.amdhsa_next_free_vgpr 16
		.amdhsa_next_free_sgpr 25
		.amdhsa_named_barrier_count 0
		.amdhsa_reserve_vcc 1
		.amdhsa_float_round_mode_32 0
		.amdhsa_float_round_mode_16_64 0
		.amdhsa_float_denorm_mode_32 3
		.amdhsa_float_denorm_mode_16_64 3
		.amdhsa_fp16_overflow 0
		.amdhsa_memory_ordered 1
		.amdhsa_forward_progress 1
		.amdhsa_inst_pref_size 13
		.amdhsa_round_robin_scheduling 0
		.amdhsa_exception_fp_ieee_invalid_op 0
		.amdhsa_exception_fp_denorm_src 0
		.amdhsa_exception_fp_ieee_div_zero 0
		.amdhsa_exception_fp_ieee_overflow 0
		.amdhsa_exception_fp_ieee_underflow 0
		.amdhsa_exception_fp_ieee_inexact 0
		.amdhsa_exception_int_div_zero 0
	.end_amdhsa_kernel
	.section	.text._ZN9rocsolver6v33100L18larfg_kernel_smallILi512EfifPfEEvT1_T3_llPT2_llS4_lS3_lPT0_l,"axG",@progbits,_ZN9rocsolver6v33100L18larfg_kernel_smallILi512EfifPfEEvT1_T3_llPT2_llS4_lS3_lPT0_l,comdat
.Lfunc_end3:
	.size	_ZN9rocsolver6v33100L18larfg_kernel_smallILi512EfifPfEEvT1_T3_llPT2_llS4_lS3_lPT0_l, .Lfunc_end3-_ZN9rocsolver6v33100L18larfg_kernel_smallILi512EfifPfEEvT1_T3_llPT2_llS4_lS3_lPT0_l
                                        ; -- End function
	.set _ZN9rocsolver6v33100L18larfg_kernel_smallILi512EfifPfEEvT1_T3_llPT2_llS4_lS3_lPT0_l.num_vgpr, 16
	.set _ZN9rocsolver6v33100L18larfg_kernel_smallILi512EfifPfEEvT1_T3_llPT2_llS4_lS3_lPT0_l.num_agpr, 0
	.set _ZN9rocsolver6v33100L18larfg_kernel_smallILi512EfifPfEEvT1_T3_llPT2_llS4_lS3_lPT0_l.numbered_sgpr, 25
	.set _ZN9rocsolver6v33100L18larfg_kernel_smallILi512EfifPfEEvT1_T3_llPT2_llS4_lS3_lPT0_l.num_named_barrier, 0
	.set _ZN9rocsolver6v33100L18larfg_kernel_smallILi512EfifPfEEvT1_T3_llPT2_llS4_lS3_lPT0_l.private_seg_size, 0
	.set _ZN9rocsolver6v33100L18larfg_kernel_smallILi512EfifPfEEvT1_T3_llPT2_llS4_lS3_lPT0_l.uses_vcc, 1
	.set _ZN9rocsolver6v33100L18larfg_kernel_smallILi512EfifPfEEvT1_T3_llPT2_llS4_lS3_lPT0_l.uses_flat_scratch, 0
	.set _ZN9rocsolver6v33100L18larfg_kernel_smallILi512EfifPfEEvT1_T3_llPT2_llS4_lS3_lPT0_l.has_dyn_sized_stack, 0
	.set _ZN9rocsolver6v33100L18larfg_kernel_smallILi512EfifPfEEvT1_T3_llPT2_llS4_lS3_lPT0_l.has_recursion, 0
	.set _ZN9rocsolver6v33100L18larfg_kernel_smallILi512EfifPfEEvT1_T3_llPT2_llS4_lS3_lPT0_l.has_indirect_call, 0
	.section	.AMDGPU.csdata,"",@progbits
; Kernel info:
; codeLenInByte = 1564
; TotalNumSgprs: 27
; NumVgprs: 16
; ScratchSize: 0
; MemoryBound: 0
; FloatMode: 240
; IeeeMode: 1
; LDSByteSize: 64 bytes/workgroup (compile time only)
; SGPRBlocks: 0
; VGPRBlocks: 0
; NumSGPRsForWavesPerEU: 27
; NumVGPRsForWavesPerEU: 16
; NamedBarCnt: 0
; Occupancy: 16
; WaveLimiterHint : 1
; COMPUTE_PGM_RSRC2:SCRATCH_EN: 0
; COMPUTE_PGM_RSRC2:USER_SGPR: 2
; COMPUTE_PGM_RSRC2:TRAP_HANDLER: 0
; COMPUTE_PGM_RSRC2:TGID_X_EN: 1
; COMPUTE_PGM_RSRC2:TGID_Y_EN: 0
; COMPUTE_PGM_RSRC2:TGID_Z_EN: 1
; COMPUTE_PGM_RSRC2:TIDIG_COMP_CNT: 0
	.section	.text._ZN9rocsolver6v33100L18larfg_kernel_smallILi1024EfifPfEEvT1_T3_llPT2_llS4_lS3_lPT0_l,"axG",@progbits,_ZN9rocsolver6v33100L18larfg_kernel_smallILi1024EfifPfEEvT1_T3_llPT2_llS4_lS3_lPT0_l,comdat
	.globl	_ZN9rocsolver6v33100L18larfg_kernel_smallILi1024EfifPfEEvT1_T3_llPT2_llS4_lS3_lPT0_l ; -- Begin function _ZN9rocsolver6v33100L18larfg_kernel_smallILi1024EfifPfEEvT1_T3_llPT2_llS4_lS3_lPT0_l
	.p2align	8
	.type	_ZN9rocsolver6v33100L18larfg_kernel_smallILi1024EfifPfEEvT1_T3_llPT2_llS4_lS3_lPT0_l,@function
_ZN9rocsolver6v33100L18larfg_kernel_smallILi1024EfifPfEEvT1_T3_llPT2_llS4_lS3_lPT0_l: ; @_ZN9rocsolver6v33100L18larfg_kernel_smallILi1024EfifPfEEvT1_T3_llPT2_llS4_lS3_lPT0_l
; %bb.0:
	s_load_b512 s[4:19], s[0:1], 0x8
	s_bfe_u32 s2, ttmp6, 0x40014
	s_lshr_b32 s3, ttmp7, 16
	s_add_co_i32 s2, s2, 1
	s_bfe_u32 s20, ttmp6, 0x40008
	s_mul_i32 s2, s3, s2
	s_getreg_b32 s21, hwreg(HW_REG_IB_STS2, 6, 4)
	s_add_co_i32 s20, s20, s2
	s_cmp_eq_u32 s21, 0
	s_mov_b32 s23, 0
	s_cselect_b32 s22, s3, s20
	s_mov_b64 s[20:21], 0
	s_wait_kmcnt 0x0
	s_cmp_eq_u64 s[10:11], 0
	s_cbranch_scc1 .LBB4_2
; %bb.1:
	s_mul_u64 s[2:3], s[14:15], s[22:23]
	s_delay_alu instid0(SALU_CYCLE_1) | instskip(NEXT) | instid1(SALU_CYCLE_1)
	s_lshl_b64 s[2:3], s[2:3], 2
	s_add_nc_u64 s[2:3], s[10:11], s[2:3]
	s_lshl_b64 s[10:11], s[12:13], 2
	s_delay_alu instid0(SALU_CYCLE_1)
	s_add_nc_u64 s[20:21], s[2:3], s[10:11]
.LBB4_2:
	s_clause 0x3
	s_load_b128 s[12:15], s[0:1], 0x50
	s_load_b32 s24, s[0:1], 0x48
	s_load_b32 s2, s[0:1], 0x0
	s_load_b64 s[10:11], s[0:1], 0x60
	v_mov_b32_e32 v2, 0
	s_wait_kmcnt 0x0
	s_mul_u64 s[0:1], s[12:13], s[22:23]
	v_mul_lo_u32 v1, v0, s24
	s_lshl_b64 s[0:1], s[0:1], 2
	s_add_co_i32 s12, s2, -1
	s_add_nc_u64 s[2:3], s[16:17], s[0:1]
	v_cmp_gt_i32_e64 s0, s12, v0
	s_lshl_b64 s[16:17], s[18:19], 2
	s_delay_alu instid0(SALU_CYCLE_1)
	s_add_nc_u64 s[2:3], s[2:3], s[16:17]
	s_and_saveexec_b32 s1, s0
	s_cbranch_execz .LBB4_6
; %bb.3:
	v_mul_lo_u32 v3, v0, s24
	v_dual_mov_b32 v2, 0 :: v_dual_mov_b32 v4, v0
	s_lshl_b32 s16, s24, 10
	s_mov_b32 s13, 0
.LBB4_4:                                ; =>This Inner Loop Header: Depth=1
	global_load_b32 v5, v3, s[2:3] scale_offset
	v_add_nc_u32_e32 v4, 0x400, v4
	s_wait_xcnt 0x0
	v_add_nc_u32_e32 v3, s16, v3
	s_delay_alu instid0(VALU_DEP_2)
	v_cmp_le_i32_e32 vcc_lo, s12, v4
	s_or_b32 s13, vcc_lo, s13
	s_wait_loadcnt 0x0
	v_fmac_f32_e32 v2, v5, v5
	s_and_not1_b32 exec_lo, exec_lo, s13
	s_cbranch_execnz .LBB4_4
; %bb.5:
	s_or_b32 exec_lo, exec_lo, s13
.LBB4_6:
	s_delay_alu instid0(SALU_CYCLE_1) | instskip(SKIP_2) | instid1(VALU_DEP_1)
	s_or_b32 exec_lo, exec_lo, s1
	v_mbcnt_lo_u32_b32 v3, -1, 0
	s_mov_b32 s1, exec_lo
	v_cmp_ne_u32_e32 vcc_lo, 31, v3
	v_add_co_ci_u32_e64 v4, null, 0, v3, vcc_lo
	v_cmp_gt_u32_e32 vcc_lo, 30, v3
	s_delay_alu instid0(VALU_DEP_2)
	v_lshlrev_b32_e32 v4, 2, v4
	v_cndmask_b32_e64 v5, 0, 2, vcc_lo
	v_cmp_gt_u32_e32 vcc_lo, 28, v3
	ds_bpermute_b32 v4, v4, v2
	v_add_lshl_u32 v5, v5, v3, 2
	s_wait_dscnt 0x0
	v_add_f32_e32 v2, v2, v4
	ds_bpermute_b32 v4, v5, v2
	v_cndmask_b32_e64 v5, 0, 4, vcc_lo
	v_cmp_gt_u32_e32 vcc_lo, 24, v3
	s_delay_alu instid0(VALU_DEP_2) | instskip(SKIP_4) | instid1(VALU_DEP_1)
	v_add_lshl_u32 v5, v5, v3, 2
	s_wait_dscnt 0x0
	v_add_f32_e32 v2, v2, v4
	ds_bpermute_b32 v4, v5, v2
	v_cndmask_b32_e64 v5, 0, 8, vcc_lo
	v_add_lshl_u32 v5, v5, v3, 2
	v_lshl_or_b32 v3, v3, 2, 64
	s_wait_dscnt 0x0
	v_add_f32_e32 v2, v2, v4
	ds_bpermute_b32 v4, v5, v2
	s_wait_dscnt 0x0
	v_add_f32_e32 v2, v2, v4
	v_and_b32_e32 v4, 31, v0
	ds_bpermute_b32 v3, v3, v2
	s_wait_dscnt 0x0
	v_add_f32_e32 v2, v2, v3
	v_cmpx_eq_u32_e32 0, v4
; %bb.7:
	v_lshrrev_b32_e32 v3, 3, v0
	ds_store_b32 v3, v2
; %bb.8:
	s_or_b32 exec_lo, exec_lo, s1
	v_cmp_eq_u32_e32 vcc_lo, 0, v0
	s_wait_dscnt 0x0
	s_barrier_signal -1
	s_barrier_wait -1
	s_and_saveexec_b32 s1, vcc_lo
	s_cbranch_execz .LBB4_10
; %bb.9:
	v_mov_b32_e32 v12, 0
	ds_load_2addr_b32 v[4:5], v12 offset0:1 offset1:2
	ds_load_2addr_b32 v[6:7], v12 offset0:3 offset1:4
	;; [unrolled: 1-line block ×4, first 2 shown]
	s_wait_dscnt 0x3
	v_add_f32_e32 v2, v2, v4
	s_delay_alu instid0(VALU_DEP_1) | instskip(SKIP_1) | instid1(VALU_DEP_1)
	v_add_f32_e32 v2, v2, v5
	s_wait_dscnt 0x2
	v_add_f32_e32 v2, v2, v6
	s_delay_alu instid0(VALU_DEP_1) | instskip(SKIP_3) | instid1(VALU_DEP_1)
	v_add_f32_e32 v4, v2, v7
	ds_load_2addr_b32 v[2:3], v12 offset0:9 offset1:10
	s_wait_dscnt 0x2
	v_add_f32_e32 v4, v4, v8
	v_add_f32_e32 v6, v4, v9
	ds_load_2addr_b32 v[4:5], v12 offset0:11 offset1:12
	s_wait_dscnt 0x2
	v_add_f32_e32 v6, v6, v10
	s_delay_alu instid0(VALU_DEP_1) | instskip(SKIP_4) | instid1(VALU_DEP_1)
	v_add_f32_e32 v10, v6, v11
	ds_load_2addr_b32 v[6:7], v12 offset0:13 offset1:14
	ds_load_2addr_b32 v[8:9], v12 offset0:15 offset1:16
	s_wait_dscnt 0x3
	v_add_f32_e32 v2, v10, v2
	v_add_f32_e32 v2, v2, v3
	s_wait_dscnt 0x2
	s_delay_alu instid0(VALU_DEP_1) | instskip(NEXT) | instid1(VALU_DEP_1)
	v_add_f32_e32 v2, v2, v4
	v_add_f32_e32 v4, v2, v5
	ds_load_2addr_b32 v[2:3], v12 offset0:17 offset1:18
	s_wait_dscnt 0x2
	v_add_f32_e32 v4, v4, v6
	s_delay_alu instid0(VALU_DEP_1) | instskip(SKIP_3) | instid1(VALU_DEP_1)
	v_add_f32_e32 v6, v4, v7
	ds_load_2addr_b32 v[4:5], v12 offset0:19 offset1:20
	s_wait_dscnt 0x2
	v_add_f32_e32 v6, v6, v8
	v_add_f32_e32 v10, v6, v9
	ds_load_2addr_b32 v[6:7], v12 offset0:21 offset1:22
	ds_load_2addr_b32 v[8:9], v12 offset0:23 offset1:24
	s_wait_dscnt 0x3
	v_add_f32_e32 v2, v10, v2
	s_delay_alu instid0(VALU_DEP_1) | instskip(SKIP_1) | instid1(VALU_DEP_1)
	v_add_f32_e32 v2, v2, v3
	s_wait_dscnt 0x2
	v_add_f32_e32 v2, v2, v4
	s_delay_alu instid0(VALU_DEP_1) | instskip(SKIP_1) | instid1(VALU_DEP_1)
	v_add_f32_e32 v2, v2, v5
	s_wait_dscnt 0x1
	v_add_f32_e32 v4, v2, v6
	ds_load_2addr_b32 v[2:3], v12 offset0:25 offset1:26
	v_add_f32_e32 v4, v4, v7
	s_wait_dscnt 0x1
	s_delay_alu instid0(VALU_DEP_1)
	v_add_f32_e32 v6, v4, v8
	ds_load_2addr_b32 v[4:5], v12 offset0:27 offset1:28
	v_add_f32_e32 v8, v6, v9
	ds_load_2addr_b32 v[6:7], v12 offset0:29 offset1:30
	ds_load_b32 v9, v12 offset:124
	s_wait_dscnt 0x3
	v_add_f32_e32 v2, v8, v2
	s_delay_alu instid0(VALU_DEP_1) | instskip(SKIP_1) | instid1(VALU_DEP_1)
	v_add_f32_e32 v2, v2, v3
	s_wait_dscnt 0x2
	v_add_f32_e32 v2, v2, v4
	s_delay_alu instid0(VALU_DEP_1) | instskip(SKIP_1) | instid1(VALU_DEP_1)
	v_add_f32_e32 v2, v2, v5
	s_wait_dscnt 0x1
	v_add_f32_e32 v2, v2, v6
	s_delay_alu instid0(VALU_DEP_1) | instskip(SKIP_1) | instid1(VALU_DEP_1)
	v_add_f32_e32 v2, v2, v7
	s_wait_dscnt 0x0
	v_add_f32_e32 v2, v2, v9
	ds_store_b32 v12, v2
.LBB4_10:
	s_or_b32 exec_lo, exec_lo, s1
	s_wait_dscnt 0x0
	s_barrier_signal -1
	s_barrier_wait -1
	s_and_saveexec_b32 s13, vcc_lo
	s_cbranch_execz .LBB4_20
; %bb.11:
	v_mov_b32_e32 v2, 0
	s_mul_u64 s[8:9], s[8:9], s[22:23]
	s_lshl_b64 s[6:7], s[6:7], 2
	s_lshl_b64 s[8:9], s[8:9], 2
	s_delay_alu instid0(SALU_CYCLE_1)
	s_add_nc_u64 s[4:5], s[4:5], s[8:9]
	ds_load_b32 v3, v2
	s_mul_u64 s[8:9], s[10:11], s[22:23]
	s_add_nc_u64 s[4:5], s[4:5], s[6:7]
	s_lshl_b64 s[8:9], s[8:9], 2
	s_cmp_eq_u64 s[20:21], 0
	s_add_nc_u64 s[6:7], s[14:15], s[8:9]
	s_cselect_b32 s8, -1, 0
	s_cmp_lg_u64 s[20:21], 0
	s_mov_b32 s10, 0
	s_cselect_b32 s9, -1, 0
	s_wait_dscnt 0x0
	v_cmp_nlt_f32_e32 vcc_lo, 0, v3
	v_readfirstlane_b32 s1, v3
	s_cbranch_vccz .LBB4_14
; %bb.12:
	v_mov_b32_e32 v3, 1.0
	s_mov_b32 s14, 0
	s_and_b32 vcc_lo, exec_lo, s9
	global_store_b32 v2, v2, s[6:7]
	ds_store_b32 v2, v3
	s_cbranch_vccz .LBB4_15
; %bb.13:
	s_wait_xcnt 0x0
	v_mov_b32_e32 v2, 0
	s_mov_b32 s11, -1
	global_load_b32 v2, v2, s[4:5]
	s_and_b32 vcc_lo, exec_lo, s14
	s_cbranch_vccnz .LBB4_16
	s_branch .LBB4_17
.LBB4_14:
	s_mov_b32 s14, -1
.LBB4_15:
	s_mov_b32 s11, 0
                                        ; implicit-def: $vgpr2
	s_and_b32 vcc_lo, exec_lo, s14
	s_cbranch_vccz .LBB4_17
.LBB4_16:
	v_mov_b32_e32 v3, 0
	global_load_b32 v4, v3, s[4:5]
	s_wait_loadcnt 0x0
	v_readfirstlane_b32 s10, v4
	v_cmp_le_f32_e32 vcc_lo, 0, v4
	s_fmac_f32 s1, s10, s10
	s_delay_alu instid0(SALU_CYCLE_3) | instskip(SKIP_1) | instid1(SALU_CYCLE_2)
	s_mul_f32 s10, s1, 0x4f800000
	s_cmp_lt_f32 s1, 0xf800000
	s_cselect_b32 s10, s10, s1
	s_delay_alu instid0(SALU_CYCLE_1) | instskip(SKIP_1) | instid1(TRANS32_DEP_1)
	v_s_sqrt_f32 s11, s10
	s_mov_b32 s15, s10
	s_add_co_i32 s14, s11, -1
	s_delay_alu instid0(SALU_CYCLE_1) | instskip(NEXT) | instid1(SALU_CYCLE_1)
	s_xor_b32 s16, s14, 0x80000000
	s_fmac_f32 s15, s16, s11
	s_mov_b32 s16, s10
	s_delay_alu instid0(SALU_CYCLE_2) | instskip(SKIP_2) | instid1(SALU_CYCLE_1)
	s_cmp_le_f32 s15, 0
	s_cselect_b32 s14, s14, s11
	s_add_co_i32 s15, s11, 1
	s_xor_b32 s17, s15, 0x80000000
	s_delay_alu instid0(SALU_CYCLE_1) | instskip(SKIP_1) | instid1(SALU_CYCLE_2)
	s_fmac_f32 s16, s17, s11
	v_cmp_class_f32_e64 s11, s10, 0x260
	s_cmp_gt_f32 s16, 0
	s_cselect_b32 s14, s15, s14
	s_cmp_lt_f32 s1, 0xf800000
	s_mul_f32 s1, s14, 0x37800000
	s_delay_alu instid0(SALU_CYCLE_3)
	s_cselect_b32 s1, s1, s14
	s_and_b32 s11, s11, exec_lo
	s_cselect_b32 s1, s10, s1
	s_mov_b32 s11, s9
	s_xor_b32 s10, s1, 0x80000000
	s_wait_xcnt 0x1
	v_mov_b32_e32 v2, s10
	s_mov_b32 s10, s8
	s_delay_alu instid0(VALU_DEP_1) | instskip(NEXT) | instid1(VALU_DEP_1)
	v_cndmask_b32_e32 v2, s1, v2, vcc_lo
	v_sub_f32_e32 v5, v4, v2
	s_delay_alu instid0(VALU_DEP_1) | instskip(NEXT) | instid1(VALU_DEP_1)
	v_div_scale_f32 v6, null, v5, v5, 1.0
	v_rcp_f32_e32 v8, v6
	v_nop
	v_xor_b32_e32 v6, 0x80000000, v6
	s_delay_alu instid0(TRANS32_DEP_1) | instid1(VALU_DEP_1)
	v_fma_f32 v10, v6, v8, 1.0
	s_delay_alu instid0(VALU_DEP_1) | instskip(SKIP_2) | instid1(VALU_DEP_2)
	v_fmac_f32_e32 v8, v10, v8
	v_sub_f32_e32 v4, v2, v4
	v_div_scale_f32 v12, vcc_lo, 1.0, v5, 1.0
	v_div_scale_f32 v7, null, v2, v2, v4
	v_div_scale_f32 v10, s1, v4, v2, v4
	s_delay_alu instid0(VALU_DEP_2)
	v_rcp_f32_e32 v9, v7
	v_nop
	v_xor_b32_e32 v7, 0x80000000, v7
	s_delay_alu instid0(TRANS32_DEP_1) | instid1(VALU_DEP_1)
	v_fma_f32 v11, v7, v9, 1.0
	s_delay_alu instid0(VALU_DEP_1) | instskip(NEXT) | instid1(VALU_DEP_1)
	v_dual_fmac_f32 v9, v11, v9 :: v_dual_mul_f32 v11, v12, v8
	v_mul_f32_e32 v13, v10, v9
	s_delay_alu instid0(VALU_DEP_1) | instskip(NEXT) | instid1(VALU_DEP_1)
	v_dual_fma_f32 v14, v6, v11, v12 :: v_dual_fma_f32 v15, v7, v13, v10
	v_dual_fmac_f32 v11, v14, v8 :: v_dual_fmac_f32 v13, v15, v9
	s_delay_alu instid0(VALU_DEP_1) | instskip(NEXT) | instid1(VALU_DEP_1)
	v_dual_fmac_f32 v12, v6, v11 :: v_dual_fmac_f32 v10, v7, v13
	v_div_fmas_f32 v6, v12, v8, v11
	s_mov_b32 vcc_lo, s1
	s_delay_alu instid0(VALU_DEP_2) | instskip(NEXT) | instid1(VALU_DEP_2)
	v_div_fmas_f32 v7, v10, v9, v13
	v_div_fixup_f32 v5, v6, v5, 1.0
	s_delay_alu instid0(VALU_DEP_2)
	v_div_fixup_f32 v4, v7, v2, v4
	ds_store_b32 v3, v5
	global_store_b32 v3, v4, s[6:7]
.LBB4_17:
	s_and_not1_b32 vcc_lo, exec_lo, s11
	s_cbranch_vccz .LBB4_24
; %bb.18:
	s_and_not1_b32 vcc_lo, exec_lo, s10
	s_cbranch_vccnz .LBB4_20
.LBB4_19:
	s_wait_xcnt 0x0
	v_mov_b32_e32 v3, 0
	s_wait_loadcnt 0x0
	global_store_b32 v3, v2, s[4:5]
.LBB4_20:
	s_wait_xcnt 0x0
	s_or_b32 exec_lo, exec_lo, s13
	s_wait_storecnt 0x0
	s_wait_loadcnt_dscnt 0x0
	s_barrier_signal -1
	s_barrier_wait -1
	s_and_saveexec_b32 s1, s0
	s_cbranch_execz .LBB4_23
; %bb.21:
	v_mov_b32_e32 v2, 0
	s_lshl_b32 s0, s24, 10
	s_mov_b32 s1, 0
	ds_load_b32 v2, v2
.LBB4_22:                               ; =>This Inner Loop Header: Depth=1
	global_load_b32 v3, v1, s[2:3] scale_offset
	s_wait_loadcnt_dscnt 0x0
	v_dual_mul_f32 v3, v2, v3 :: v_dual_add_nc_u32 v0, 0x400, v0
	s_delay_alu instid0(VALU_DEP_1) | instskip(SKIP_4) | instid1(SALU_CYCLE_1)
	v_cmp_le_i32_e32 vcc_lo, s12, v0
	global_store_b32 v1, v3, s[2:3] scale_offset
	s_wait_xcnt 0x0
	v_add_nc_u32_e32 v1, s0, v1
	s_or_b32 s1, vcc_lo, s1
	s_and_not1_b32 exec_lo, exec_lo, s1
	s_cbranch_execnz .LBB4_22
.LBB4_23:
	s_endpgm
.LBB4_24:
	s_wait_xcnt 0x0
	v_mov_b32_e32 v3, 0
	s_wait_loadcnt 0x0
	global_store_b32 v3, v2, s[20:21]
	s_wait_xcnt 0x0
	v_mov_b32_e32 v2, 1.0
	s_branch .LBB4_19
	.section	.rodata,"a",@progbits
	.p2align	6, 0x0
	.amdhsa_kernel _ZN9rocsolver6v33100L18larfg_kernel_smallILi1024EfifPfEEvT1_T3_llPT2_llS4_lS3_lPT0_l
		.amdhsa_group_segment_fixed_size 128
		.amdhsa_private_segment_fixed_size 0
		.amdhsa_kernarg_size 104
		.amdhsa_user_sgpr_count 2
		.amdhsa_user_sgpr_dispatch_ptr 0
		.amdhsa_user_sgpr_queue_ptr 0
		.amdhsa_user_sgpr_kernarg_segment_ptr 1
		.amdhsa_user_sgpr_dispatch_id 0
		.amdhsa_user_sgpr_kernarg_preload_length 0
		.amdhsa_user_sgpr_kernarg_preload_offset 0
		.amdhsa_user_sgpr_private_segment_size 0
		.amdhsa_wavefront_size32 1
		.amdhsa_uses_dynamic_stack 0
		.amdhsa_enable_private_segment 0
		.amdhsa_system_sgpr_workgroup_id_x 1
		.amdhsa_system_sgpr_workgroup_id_y 0
		.amdhsa_system_sgpr_workgroup_id_z 1
		.amdhsa_system_sgpr_workgroup_info 0
		.amdhsa_system_vgpr_workitem_id 0
		.amdhsa_next_free_vgpr 16
		.amdhsa_next_free_sgpr 25
		.amdhsa_named_barrier_count 0
		.amdhsa_reserve_vcc 1
		.amdhsa_float_round_mode_32 0
		.amdhsa_float_round_mode_16_64 0
		.amdhsa_float_denorm_mode_32 3
		.amdhsa_float_denorm_mode_16_64 3
		.amdhsa_fp16_overflow 0
		.amdhsa_memory_ordered 1
		.amdhsa_forward_progress 1
		.amdhsa_inst_pref_size 14
		.amdhsa_round_robin_scheduling 0
		.amdhsa_exception_fp_ieee_invalid_op 0
		.amdhsa_exception_fp_denorm_src 0
		.amdhsa_exception_fp_ieee_div_zero 0
		.amdhsa_exception_fp_ieee_overflow 0
		.amdhsa_exception_fp_ieee_underflow 0
		.amdhsa_exception_fp_ieee_inexact 0
		.amdhsa_exception_int_div_zero 0
	.end_amdhsa_kernel
	.section	.text._ZN9rocsolver6v33100L18larfg_kernel_smallILi1024EfifPfEEvT1_T3_llPT2_llS4_lS3_lPT0_l,"axG",@progbits,_ZN9rocsolver6v33100L18larfg_kernel_smallILi1024EfifPfEEvT1_T3_llPT2_llS4_lS3_lPT0_l,comdat
.Lfunc_end4:
	.size	_ZN9rocsolver6v33100L18larfg_kernel_smallILi1024EfifPfEEvT1_T3_llPT2_llS4_lS3_lPT0_l, .Lfunc_end4-_ZN9rocsolver6v33100L18larfg_kernel_smallILi1024EfifPfEEvT1_T3_llPT2_llS4_lS3_lPT0_l
                                        ; -- End function
	.set _ZN9rocsolver6v33100L18larfg_kernel_smallILi1024EfifPfEEvT1_T3_llPT2_llS4_lS3_lPT0_l.num_vgpr, 16
	.set _ZN9rocsolver6v33100L18larfg_kernel_smallILi1024EfifPfEEvT1_T3_llPT2_llS4_lS3_lPT0_l.num_agpr, 0
	.set _ZN9rocsolver6v33100L18larfg_kernel_smallILi1024EfifPfEEvT1_T3_llPT2_llS4_lS3_lPT0_l.numbered_sgpr, 25
	.set _ZN9rocsolver6v33100L18larfg_kernel_smallILi1024EfifPfEEvT1_T3_llPT2_llS4_lS3_lPT0_l.num_named_barrier, 0
	.set _ZN9rocsolver6v33100L18larfg_kernel_smallILi1024EfifPfEEvT1_T3_llPT2_llS4_lS3_lPT0_l.private_seg_size, 0
	.set _ZN9rocsolver6v33100L18larfg_kernel_smallILi1024EfifPfEEvT1_T3_llPT2_llS4_lS3_lPT0_l.uses_vcc, 1
	.set _ZN9rocsolver6v33100L18larfg_kernel_smallILi1024EfifPfEEvT1_T3_llPT2_llS4_lS3_lPT0_l.uses_flat_scratch, 0
	.set _ZN9rocsolver6v33100L18larfg_kernel_smallILi1024EfifPfEEvT1_T3_llPT2_llS4_lS3_lPT0_l.has_dyn_sized_stack, 0
	.set _ZN9rocsolver6v33100L18larfg_kernel_smallILi1024EfifPfEEvT1_T3_llPT2_llS4_lS3_lPT0_l.has_recursion, 0
	.set _ZN9rocsolver6v33100L18larfg_kernel_smallILi1024EfifPfEEvT1_T3_llPT2_llS4_lS3_lPT0_l.has_indirect_call, 0
	.section	.AMDGPU.csdata,"",@progbits
; Kernel info:
; codeLenInByte = 1744
; TotalNumSgprs: 27
; NumVgprs: 16
; ScratchSize: 0
; MemoryBound: 0
; FloatMode: 240
; IeeeMode: 1
; LDSByteSize: 128 bytes/workgroup (compile time only)
; SGPRBlocks: 0
; VGPRBlocks: 0
; NumSGPRsForWavesPerEU: 27
; NumVGPRsForWavesPerEU: 16
; NamedBarCnt: 0
; Occupancy: 16
; WaveLimiterHint : 1
; COMPUTE_PGM_RSRC2:SCRATCH_EN: 0
; COMPUTE_PGM_RSRC2:USER_SGPR: 2
; COMPUTE_PGM_RSRC2:TRAP_HANDLER: 0
; COMPUTE_PGM_RSRC2:TGID_X_EN: 1
; COMPUTE_PGM_RSRC2:TGID_Y_EN: 0
; COMPUTE_PGM_RSRC2:TGID_Z_EN: 1
; COMPUTE_PGM_RSRC2:TIDIG_COMP_CNT: 0
	.section	.text._ZN9rocsolver6v33100L18larfg_kernel_smallILi64EfifPKPfEEvT1_T3_llPT2_llS6_lS5_lPT0_l,"axG",@progbits,_ZN9rocsolver6v33100L18larfg_kernel_smallILi64EfifPKPfEEvT1_T3_llPT2_llS6_lS5_lPT0_l,comdat
	.globl	_ZN9rocsolver6v33100L18larfg_kernel_smallILi64EfifPKPfEEvT1_T3_llPT2_llS6_lS5_lPT0_l ; -- Begin function _ZN9rocsolver6v33100L18larfg_kernel_smallILi64EfifPKPfEEvT1_T3_llPT2_llS6_lS5_lPT0_l
	.p2align	8
	.type	_ZN9rocsolver6v33100L18larfg_kernel_smallILi64EfifPKPfEEvT1_T3_llPT2_llS6_lS5_lPT0_l,@function
_ZN9rocsolver6v33100L18larfg_kernel_smallILi64EfifPKPfEEvT1_T3_llPT2_llS6_lS5_lPT0_l: ; @_ZN9rocsolver6v33100L18larfg_kernel_smallILi64EfifPKPfEEvT1_T3_llPT2_llS6_lS5_lPT0_l
; %bb.0:
	s_load_b256 s[4:11], s[0:1], 0x20
	s_bfe_u32 s2, ttmp6, 0x40014
	s_lshr_b32 s3, ttmp7, 16
	s_add_co_i32 s2, s2, 1
	s_bfe_u32 s12, ttmp6, 0x40008
	s_mul_i32 s2, s3, s2
	s_getreg_b32 s13, hwreg(HW_REG_IB_STS2, 6, 4)
	s_add_co_i32 s2, s12, s2
	s_cmp_eq_u32 s13, 0
	s_load_b128 s[12:15], s[0:1], 0x8
	s_cselect_b32 s16, s3, s2
	s_mov_b32 s17, 0
	s_load_b64 s[18:19], s[0:1], 0x40
	s_wait_kmcnt 0x0
	s_load_b64 s[20:21], s[10:11], s16 offset:0x0 scale_offset
	s_cmp_eq_u64 s[4:5], 0
	s_wait_xcnt 0x0
	s_mov_b64 s[10:11], 0
	s_cbranch_scc1 .LBB5_2
; %bb.1:
	s_mul_u64 s[2:3], s[8:9], s[16:17]
	s_delay_alu instid0(SALU_CYCLE_1) | instskip(NEXT) | instid1(SALU_CYCLE_1)
	s_lshl_b64 s[2:3], s[2:3], 2
	s_add_nc_u64 s[2:3], s[4:5], s[2:3]
	s_lshl_b64 s[4:5], s[6:7], 2
	s_delay_alu instid0(SALU_CYCLE_1)
	s_add_nc_u64 s[10:11], s[2:3], s[4:5]
.LBB5_2:
	s_clause 0x1
	s_load_b32 s22, s[0:1], 0x48
	s_load_b32 s3, s[0:1], 0x0
	s_load_b64 s[6:7], s[12:13], s16 offset:0x0 scale_offset
	v_mov_b32_e32 v2, 0
	s_lshl_b64 s[4:5], s[18:19], 2
	s_wait_kmcnt 0x0
	s_add_nc_u64 s[4:5], s[20:21], s[4:5]
	v_mul_lo_u32 v1, v0, s22
	s_add_co_i32 s3, s3, -1
	s_delay_alu instid0(SALU_CYCLE_1)
	v_cmp_gt_i32_e64 s2, s3, v0
	s_and_saveexec_b32 s8, s2
	s_cbranch_execz .LBB5_6
; %bb.3:
	v_mul_lo_u32 v3, v0, s22
	v_dual_mov_b32 v2, 0 :: v_dual_mov_b32 v4, v0
	s_lshl_b32 s12, s22, 6
	s_mov_b32 s9, 0
.LBB5_4:                                ; =>This Inner Loop Header: Depth=1
	flat_load_b32 v5, v3, s[4:5] scale_offset
	s_wait_xcnt 0x0
	v_dual_add_nc_u32 v4, 64, v4 :: v_dual_add_nc_u32 v3, s12, v3
	s_delay_alu instid0(VALU_DEP_1)
	v_cmp_le_i32_e32 vcc_lo, s3, v4
	s_or_b32 s9, vcc_lo, s9
	s_wait_loadcnt_dscnt 0x0
	v_fmac_f32_e32 v2, v5, v5
	s_and_not1_b32 exec_lo, exec_lo, s9
	s_cbranch_execnz .LBB5_4
; %bb.5:
	s_or_b32 exec_lo, exec_lo, s9
.LBB5_6:
	s_delay_alu instid0(SALU_CYCLE_1) | instskip(SKIP_2) | instid1(VALU_DEP_1)
	s_or_b32 exec_lo, exec_lo, s8
	v_mbcnt_lo_u32_b32 v3, -1, 0
	s_mov_b32 s8, exec_lo
	v_cmp_ne_u32_e32 vcc_lo, 31, v3
	v_add_co_ci_u32_e64 v4, null, 0, v3, vcc_lo
	v_cmp_gt_u32_e32 vcc_lo, 30, v3
	s_delay_alu instid0(VALU_DEP_2)
	v_lshlrev_b32_e32 v4, 2, v4
	v_cndmask_b32_e64 v5, 0, 2, vcc_lo
	v_cmp_gt_u32_e32 vcc_lo, 28, v3
	ds_bpermute_b32 v4, v4, v2
	v_add_lshl_u32 v5, v5, v3, 2
	s_wait_dscnt 0x0
	v_add_f32_e32 v2, v2, v4
	ds_bpermute_b32 v4, v5, v2
	v_cndmask_b32_e64 v5, 0, 4, vcc_lo
	v_cmp_gt_u32_e32 vcc_lo, 24, v3
	s_delay_alu instid0(VALU_DEP_2) | instskip(SKIP_4) | instid1(VALU_DEP_1)
	v_add_lshl_u32 v5, v5, v3, 2
	s_wait_dscnt 0x0
	v_add_f32_e32 v2, v2, v4
	ds_bpermute_b32 v4, v5, v2
	v_cndmask_b32_e64 v5, 0, 8, vcc_lo
	v_add_lshl_u32 v5, v5, v3, 2
	v_lshl_or_b32 v3, v3, 2, 64
	s_wait_dscnt 0x0
	v_add_f32_e32 v2, v2, v4
	ds_bpermute_b32 v4, v5, v2
	s_wait_dscnt 0x0
	v_add_f32_e32 v2, v2, v4
	v_and_b32_e32 v4, 31, v0
	ds_bpermute_b32 v3, v3, v2
	s_wait_dscnt 0x0
	v_add_f32_e32 v2, v2, v3
	v_cmpx_eq_u32_e32 0, v4
; %bb.7:
	v_lshrrev_b32_e32 v3, 3, v0
	ds_store_b32 v3, v2
; %bb.8:
	s_or_b32 exec_lo, exec_lo, s8
	v_cmp_eq_u32_e32 vcc_lo, 0, v0
	s_wait_dscnt 0x0
	s_barrier_signal -1
	s_barrier_wait -1
	s_and_saveexec_b32 s8, vcc_lo
	s_cbranch_execz .LBB5_10
; %bb.9:
	v_mov_b32_e32 v3, 0
	ds_load_b32 v4, v3 offset:4
	s_wait_dscnt 0x0
	v_add_f32_e32 v2, v2, v4
	ds_store_b32 v3, v2
.LBB5_10:
	s_or_b32 exec_lo, exec_lo, s8
	s_wait_dscnt 0x0
	s_barrier_signal -1
	s_barrier_wait -1
	s_and_saveexec_b32 s12, vcc_lo
	s_cbranch_execz .LBB5_17
; %bb.11:
	v_mov_b32_e32 v4, 0
	s_load_b128 s[24:27], s[0:1], 0x58
	s_wait_xcnt 0x0
	s_lshl_b64 s[0:1], s[14:15], 2
	s_delay_alu instid0(SALU_CYCLE_1) | instskip(SKIP_4) | instid1(SALU_CYCLE_1)
	s_add_nc_u64 s[6:7], s[6:7], s[0:1]
	ds_load_b32 v3, v4
	s_mov_b32 s0, 0
	s_wait_kmcnt 0x0
	s_mul_u64 s[8:9], s[26:27], s[16:17]
	s_lshl_b64 s[8:9], s[8:9], 2
	s_cmp_eq_u64 s[10:11], 0
	s_wait_dscnt 0x0
	v_cmp_nlt_f32_e32 vcc_lo, 0, v3
	s_cselect_b32 s1, -1, 0
	s_cmp_lg_u64 s[10:11], 0
	s_add_nc_u64 s[8:9], s[24:25], s[8:9]
	s_cselect_b32 s13, -1, 0
	s_cbranch_vccz .LBB5_21
; %bb.12:
	v_mov_b32_e32 v5, 1.0
	s_mov_b32 s15, 0
	s_and_b32 vcc_lo, exec_lo, s13
	s_mov_b32 s14, 0
                                        ; implicit-def: $vgpr2
	global_store_b32 v4, v4, s[8:9]
	ds_store_b32 v4, v5
	s_cbranch_vccnz .LBB5_22
; %bb.13:
	s_and_b32 vcc_lo, exec_lo, s15
	s_cbranch_vccnz .LBB5_23
.LBB5_14:
	s_and_not1_b32 vcc_lo, exec_lo, s14
	s_cbranch_vccz .LBB5_24
.LBB5_15:
	s_and_not1_b32 vcc_lo, exec_lo, s0
	s_cbranch_vccnz .LBB5_17
.LBB5_16:
	s_wait_xcnt 0x0
	v_mov_b32_e32 v3, 0
	s_wait_loadcnt_dscnt 0x0
	flat_store_b32 v3, v2, s[6:7]
.LBB5_17:
	s_wait_xcnt 0x0
	s_or_b32 exec_lo, exec_lo, s12
	s_wait_storecnt 0x0
	s_wait_loadcnt_dscnt 0x0
	s_barrier_signal -1
	s_barrier_wait -1
	s_and_saveexec_b32 s0, s2
	s_cbranch_execz .LBB5_20
; %bb.18:
	v_mov_b32_e32 v2, 0
	s_lshl_b32 s0, s22, 6
	s_mov_b32 s1, 0
	ds_load_b32 v2, v2
.LBB5_19:                               ; =>This Inner Loop Header: Depth=1
	flat_load_b32 v3, v1, s[4:5] scale_offset
	s_wait_loadcnt_dscnt 0x0
	v_dual_mul_f32 v3, v2, v3 :: v_dual_add_nc_u32 v0, 64, v0
	s_delay_alu instid0(VALU_DEP_1) | instskip(SKIP_4) | instid1(SALU_CYCLE_1)
	v_cmp_le_i32_e32 vcc_lo, s3, v0
	flat_store_b32 v1, v3, s[4:5] scale_offset
	s_wait_xcnt 0x0
	v_add_nc_u32_e32 v1, s0, v1
	s_or_b32 s1, vcc_lo, s1
	s_and_not1_b32 exec_lo, exec_lo, s1
	s_cbranch_execnz .LBB5_19
.LBB5_20:
	s_endpgm
.LBB5_21:
	s_mov_b32 s14, 0
                                        ; implicit-def: $vgpr2
	s_cbranch_execz .LBB5_14
	s_branch .LBB5_23
.LBB5_22:
	v_mov_b32_e32 v2, 0
	s_mov_b32 s14, -1
	flat_load_b32 v2, v2, s[6:7]
	s_and_b32 vcc_lo, exec_lo, s15
	s_cbranch_vccz .LBB5_14
.LBB5_23:
	s_wait_xcnt 0x0
	v_mov_b32_e32 v4, 0
	s_mov_b32 s14, s13
	flat_load_b32 v5, v4, s[6:7]
	s_wait_loadcnt_dscnt 0x0
	v_fmac_f32_e32 v3, v5, v5
	s_delay_alu instid0(VALU_DEP_1) | instskip(SKIP_1) | instid1(VALU_DEP_2)
	v_mul_f32_e32 v2, 0x4f800000, v3
	v_cmp_gt_f32_e32 vcc_lo, 0xf800000, v3
	v_cndmask_b32_e32 v2, v3, v2, vcc_lo
	s_delay_alu instid0(VALU_DEP_1) | instskip(SKIP_1) | instid1(TRANS32_DEP_1)
	v_sqrt_f32_e32 v3, v2
	v_nop
	v_dual_add_nc_u32 v6, -1, v3 :: v_dual_add_nc_u32 v7, 1, v3
	s_delay_alu instid0(VALU_DEP_1) | instskip(NEXT) | instid1(VALU_DEP_1)
	v_dual_fma_f32 v8, -v6, v3, v2 :: v_dual_fma_f32 v9, -v7, v3, v2
	v_cmp_ge_f32_e64 s0, 0, v8
	s_delay_alu instid0(VALU_DEP_1) | instskip(NEXT) | instid1(VALU_DEP_3)
	v_cndmask_b32_e64 v3, v3, v6, s0
	v_cmp_lt_f32_e64 s0, 0, v9
	s_delay_alu instid0(VALU_DEP_1) | instskip(SKIP_1) | instid1(VALU_DEP_1)
	v_cndmask_b32_e64 v3, v3, v7, s0
	s_mov_b32 s0, s1
	v_mul_f32_e32 v6, 0x37800000, v3
	s_delay_alu instid0(VALU_DEP_1) | instskip(SKIP_1) | instid1(VALU_DEP_2)
	v_cndmask_b32_e32 v3, v3, v6, vcc_lo
	v_cmp_class_f32_e64 vcc_lo, v2, 0x260
	v_cndmask_b32_e32 v2, v3, v2, vcc_lo
	v_cmp_le_f32_e32 vcc_lo, 0, v5
	s_delay_alu instid0(VALU_DEP_2) | instskip(NEXT) | instid1(VALU_DEP_1)
	v_cndmask_b32_e64 v2, v2, -v2, vcc_lo
	v_sub_f32_e32 v3, v5, v2
	s_delay_alu instid0(VALU_DEP_1) | instskip(SKIP_1) | instid1(VALU_DEP_2)
	v_div_scale_f32 v5, null, v3, v3, 1.0
	v_div_scale_f32 v8, vcc_lo, 1.0, v3, 1.0
	v_rcp_f32_e32 v6, v5
	v_nop
	s_delay_alu instid0(TRANS32_DEP_1) | instskip(NEXT) | instid1(VALU_DEP_1)
	v_fma_f32 v7, -v5, v6, 1.0
	v_fmac_f32_e32 v6, v7, v6
	s_delay_alu instid0(VALU_DEP_1) | instskip(NEXT) | instid1(VALU_DEP_1)
	v_mul_f32_e32 v7, v8, v6
	v_fma_f32 v9, -v5, v7, v8
	s_delay_alu instid0(VALU_DEP_1) | instskip(NEXT) | instid1(VALU_DEP_1)
	v_fmac_f32_e32 v7, v9, v6
	v_fma_f32 v5, -v5, v7, v8
	s_delay_alu instid0(VALU_DEP_1) | instskip(NEXT) | instid1(VALU_DEP_1)
	v_div_fmas_f32 v5, v5, v6, v7
	v_div_fixup_f32 v3, v5, v3, 1.0
	ds_store_b32 v4, v3
	flat_load_b32 v3, v4, s[6:7]
	s_wait_loadcnt_dscnt 0x0
	v_sub_f32_e32 v3, v2, v3
	s_delay_alu instid0(VALU_DEP_1) | instskip(NEXT) | instid1(VALU_DEP_1)
	v_div_scale_f32 v5, null, v2, v2, v3
	v_rcp_f32_e32 v6, v5
	v_nop
	s_delay_alu instid0(TRANS32_DEP_1) | instskip(NEXT) | instid1(VALU_DEP_1)
	v_fma_f32 v7, -v5, v6, 1.0
	v_fmac_f32_e32 v6, v7, v6
	v_div_scale_f32 v7, vcc_lo, v3, v2, v3
	s_delay_alu instid0(VALU_DEP_1) | instskip(NEXT) | instid1(VALU_DEP_1)
	v_mul_f32_e32 v8, v7, v6
	v_fma_f32 v9, -v5, v8, v7
	s_delay_alu instid0(VALU_DEP_1) | instskip(NEXT) | instid1(VALU_DEP_1)
	v_fmac_f32_e32 v8, v9, v6
	v_fma_f32 v5, -v5, v8, v7
	s_delay_alu instid0(VALU_DEP_1) | instskip(NEXT) | instid1(VALU_DEP_1)
	v_div_fmas_f32 v5, v5, v6, v8
	v_div_fixup_f32 v3, v5, v2, v3
	global_store_b32 v4, v3, s[8:9]
	s_and_not1_b32 vcc_lo, exec_lo, s14
	s_cbranch_vccnz .LBB5_15
.LBB5_24:
	s_wait_xcnt 0x0
	v_mov_b32_e32 v3, 0
	s_wait_loadcnt_dscnt 0x0
	global_store_b32 v3, v2, s[10:11]
	s_wait_xcnt 0x0
	v_mov_b32_e32 v2, 1.0
	s_branch .LBB5_16
	.section	.rodata,"a",@progbits
	.p2align	6, 0x0
	.amdhsa_kernel _ZN9rocsolver6v33100L18larfg_kernel_smallILi64EfifPKPfEEvT1_T3_llPT2_llS6_lS5_lPT0_l
		.amdhsa_group_segment_fixed_size 8
		.amdhsa_private_segment_fixed_size 0
		.amdhsa_kernarg_size 104
		.amdhsa_user_sgpr_count 2
		.amdhsa_user_sgpr_dispatch_ptr 0
		.amdhsa_user_sgpr_queue_ptr 0
		.amdhsa_user_sgpr_kernarg_segment_ptr 1
		.amdhsa_user_sgpr_dispatch_id 0
		.amdhsa_user_sgpr_kernarg_preload_length 0
		.amdhsa_user_sgpr_kernarg_preload_offset 0
		.amdhsa_user_sgpr_private_segment_size 0
		.amdhsa_wavefront_size32 1
		.amdhsa_uses_dynamic_stack 0
		.amdhsa_enable_private_segment 0
		.amdhsa_system_sgpr_workgroup_id_x 1
		.amdhsa_system_sgpr_workgroup_id_y 0
		.amdhsa_system_sgpr_workgroup_id_z 1
		.amdhsa_system_sgpr_workgroup_info 0
		.amdhsa_system_vgpr_workitem_id 0
		.amdhsa_next_free_vgpr 10
		.amdhsa_next_free_sgpr 28
		.amdhsa_named_barrier_count 0
		.amdhsa_reserve_vcc 1
		.amdhsa_float_round_mode_32 0
		.amdhsa_float_round_mode_16_64 0
		.amdhsa_float_denorm_mode_32 3
		.amdhsa_float_denorm_mode_16_64 3
		.amdhsa_fp16_overflow 0
		.amdhsa_memory_ordered 1
		.amdhsa_forward_progress 1
		.amdhsa_inst_pref_size 11
		.amdhsa_round_robin_scheduling 0
		.amdhsa_exception_fp_ieee_invalid_op 0
		.amdhsa_exception_fp_denorm_src 0
		.amdhsa_exception_fp_ieee_div_zero 0
		.amdhsa_exception_fp_ieee_overflow 0
		.amdhsa_exception_fp_ieee_underflow 0
		.amdhsa_exception_fp_ieee_inexact 0
		.amdhsa_exception_int_div_zero 0
	.end_amdhsa_kernel
	.section	.text._ZN9rocsolver6v33100L18larfg_kernel_smallILi64EfifPKPfEEvT1_T3_llPT2_llS6_lS5_lPT0_l,"axG",@progbits,_ZN9rocsolver6v33100L18larfg_kernel_smallILi64EfifPKPfEEvT1_T3_llPT2_llS6_lS5_lPT0_l,comdat
.Lfunc_end5:
	.size	_ZN9rocsolver6v33100L18larfg_kernel_smallILi64EfifPKPfEEvT1_T3_llPT2_llS6_lS5_lPT0_l, .Lfunc_end5-_ZN9rocsolver6v33100L18larfg_kernel_smallILi64EfifPKPfEEvT1_T3_llPT2_llS6_lS5_lPT0_l
                                        ; -- End function
	.set _ZN9rocsolver6v33100L18larfg_kernel_smallILi64EfifPKPfEEvT1_T3_llPT2_llS6_lS5_lPT0_l.num_vgpr, 10
	.set _ZN9rocsolver6v33100L18larfg_kernel_smallILi64EfifPKPfEEvT1_T3_llPT2_llS6_lS5_lPT0_l.num_agpr, 0
	.set _ZN9rocsolver6v33100L18larfg_kernel_smallILi64EfifPKPfEEvT1_T3_llPT2_llS6_lS5_lPT0_l.numbered_sgpr, 28
	.set _ZN9rocsolver6v33100L18larfg_kernel_smallILi64EfifPKPfEEvT1_T3_llPT2_llS6_lS5_lPT0_l.num_named_barrier, 0
	.set _ZN9rocsolver6v33100L18larfg_kernel_smallILi64EfifPKPfEEvT1_T3_llPT2_llS6_lS5_lPT0_l.private_seg_size, 0
	.set _ZN9rocsolver6v33100L18larfg_kernel_smallILi64EfifPKPfEEvT1_T3_llPT2_llS6_lS5_lPT0_l.uses_vcc, 1
	.set _ZN9rocsolver6v33100L18larfg_kernel_smallILi64EfifPKPfEEvT1_T3_llPT2_llS6_lS5_lPT0_l.uses_flat_scratch, 0
	.set _ZN9rocsolver6v33100L18larfg_kernel_smallILi64EfifPKPfEEvT1_T3_llPT2_llS6_lS5_lPT0_l.has_dyn_sized_stack, 0
	.set _ZN9rocsolver6v33100L18larfg_kernel_smallILi64EfifPKPfEEvT1_T3_llPT2_llS6_lS5_lPT0_l.has_recursion, 0
	.set _ZN9rocsolver6v33100L18larfg_kernel_smallILi64EfifPKPfEEvT1_T3_llPT2_llS6_lS5_lPT0_l.has_indirect_call, 0
	.section	.AMDGPU.csdata,"",@progbits
; Kernel info:
; codeLenInByte = 1384
; TotalNumSgprs: 30
; NumVgprs: 10
; ScratchSize: 0
; MemoryBound: 0
; FloatMode: 240
; IeeeMode: 1
; LDSByteSize: 8 bytes/workgroup (compile time only)
; SGPRBlocks: 0
; VGPRBlocks: 0
; NumSGPRsForWavesPerEU: 30
; NumVGPRsForWavesPerEU: 10
; NamedBarCnt: 0
; Occupancy: 16
; WaveLimiterHint : 1
; COMPUTE_PGM_RSRC2:SCRATCH_EN: 0
; COMPUTE_PGM_RSRC2:USER_SGPR: 2
; COMPUTE_PGM_RSRC2:TRAP_HANDLER: 0
; COMPUTE_PGM_RSRC2:TGID_X_EN: 1
; COMPUTE_PGM_RSRC2:TGID_Y_EN: 0
; COMPUTE_PGM_RSRC2:TGID_Z_EN: 1
; COMPUTE_PGM_RSRC2:TIDIG_COMP_CNT: 0
	.section	.text._ZN9rocsolver6v33100L18larfg_kernel_smallILi128EfifPKPfEEvT1_T3_llPT2_llS6_lS5_lPT0_l,"axG",@progbits,_ZN9rocsolver6v33100L18larfg_kernel_smallILi128EfifPKPfEEvT1_T3_llPT2_llS6_lS5_lPT0_l,comdat
	.globl	_ZN9rocsolver6v33100L18larfg_kernel_smallILi128EfifPKPfEEvT1_T3_llPT2_llS6_lS5_lPT0_l ; -- Begin function _ZN9rocsolver6v33100L18larfg_kernel_smallILi128EfifPKPfEEvT1_T3_llPT2_llS6_lS5_lPT0_l
	.p2align	8
	.type	_ZN9rocsolver6v33100L18larfg_kernel_smallILi128EfifPKPfEEvT1_T3_llPT2_llS6_lS5_lPT0_l,@function
_ZN9rocsolver6v33100L18larfg_kernel_smallILi128EfifPKPfEEvT1_T3_llPT2_llS6_lS5_lPT0_l: ; @_ZN9rocsolver6v33100L18larfg_kernel_smallILi128EfifPKPfEEvT1_T3_llPT2_llS6_lS5_lPT0_l
; %bb.0:
	s_load_b256 s[4:11], s[0:1], 0x20
	s_bfe_u32 s2, ttmp6, 0x40014
	s_lshr_b32 s3, ttmp7, 16
	s_add_co_i32 s2, s2, 1
	s_bfe_u32 s12, ttmp6, 0x40008
	s_mul_i32 s2, s3, s2
	s_getreg_b32 s13, hwreg(HW_REG_IB_STS2, 6, 4)
	s_add_co_i32 s2, s12, s2
	s_cmp_eq_u32 s13, 0
	s_load_b128 s[12:15], s[0:1], 0x8
	s_cselect_b32 s16, s3, s2
	s_mov_b32 s17, 0
	s_load_b64 s[18:19], s[0:1], 0x40
	s_wait_kmcnt 0x0
	s_load_b64 s[20:21], s[10:11], s16 offset:0x0 scale_offset
	s_cmp_eq_u64 s[4:5], 0
	s_wait_xcnt 0x0
	s_mov_b64 s[10:11], 0
	s_cbranch_scc1 .LBB6_2
; %bb.1:
	s_mul_u64 s[2:3], s[8:9], s[16:17]
	s_delay_alu instid0(SALU_CYCLE_1) | instskip(NEXT) | instid1(SALU_CYCLE_1)
	s_lshl_b64 s[2:3], s[2:3], 2
	s_add_nc_u64 s[2:3], s[4:5], s[2:3]
	s_lshl_b64 s[4:5], s[6:7], 2
	s_delay_alu instid0(SALU_CYCLE_1)
	s_add_nc_u64 s[10:11], s[2:3], s[4:5]
.LBB6_2:
	s_clause 0x1
	s_load_b32 s22, s[0:1], 0x48
	s_load_b32 s3, s[0:1], 0x0
	s_load_b64 s[6:7], s[12:13], s16 offset:0x0 scale_offset
	v_mov_b32_e32 v2, 0
	s_lshl_b64 s[4:5], s[18:19], 2
	s_wait_kmcnt 0x0
	s_add_nc_u64 s[4:5], s[20:21], s[4:5]
	v_mul_lo_u32 v1, v0, s22
	s_add_co_i32 s3, s3, -1
	s_delay_alu instid0(SALU_CYCLE_1)
	v_cmp_gt_i32_e64 s2, s3, v0
	s_and_saveexec_b32 s8, s2
	s_cbranch_execz .LBB6_6
; %bb.3:
	v_mul_lo_u32 v3, v0, s22
	v_dual_mov_b32 v2, 0 :: v_dual_mov_b32 v4, v0
	s_lshl_b32 s12, s22, 7
	s_mov_b32 s9, 0
.LBB6_4:                                ; =>This Inner Loop Header: Depth=1
	flat_load_b32 v5, v3, s[4:5] scale_offset
	v_add_nc_u32_e32 v4, 0x80, v4
	s_wait_xcnt 0x0
	v_add_nc_u32_e32 v3, s12, v3
	s_delay_alu instid0(VALU_DEP_2)
	v_cmp_le_i32_e32 vcc_lo, s3, v4
	s_or_b32 s9, vcc_lo, s9
	s_wait_loadcnt_dscnt 0x0
	v_fmac_f32_e32 v2, v5, v5
	s_and_not1_b32 exec_lo, exec_lo, s9
	s_cbranch_execnz .LBB6_4
; %bb.5:
	s_or_b32 exec_lo, exec_lo, s9
.LBB6_6:
	s_delay_alu instid0(SALU_CYCLE_1) | instskip(SKIP_2) | instid1(VALU_DEP_1)
	s_or_b32 exec_lo, exec_lo, s8
	v_mbcnt_lo_u32_b32 v3, -1, 0
	s_mov_b32 s8, exec_lo
	v_cmp_ne_u32_e32 vcc_lo, 31, v3
	v_add_co_ci_u32_e64 v4, null, 0, v3, vcc_lo
	v_cmp_gt_u32_e32 vcc_lo, 30, v3
	s_delay_alu instid0(VALU_DEP_2)
	v_lshlrev_b32_e32 v4, 2, v4
	v_cndmask_b32_e64 v5, 0, 2, vcc_lo
	v_cmp_gt_u32_e32 vcc_lo, 28, v3
	ds_bpermute_b32 v4, v4, v2
	v_add_lshl_u32 v5, v5, v3, 2
	s_wait_dscnt 0x0
	v_add_f32_e32 v2, v2, v4
	ds_bpermute_b32 v4, v5, v2
	v_cndmask_b32_e64 v5, 0, 4, vcc_lo
	v_cmp_gt_u32_e32 vcc_lo, 24, v3
	s_delay_alu instid0(VALU_DEP_2) | instskip(SKIP_4) | instid1(VALU_DEP_1)
	v_add_lshl_u32 v5, v5, v3, 2
	s_wait_dscnt 0x0
	v_add_f32_e32 v2, v2, v4
	ds_bpermute_b32 v4, v5, v2
	v_cndmask_b32_e64 v5, 0, 8, vcc_lo
	v_add_lshl_u32 v5, v5, v3, 2
	v_lshl_or_b32 v3, v3, 2, 64
	s_wait_dscnt 0x0
	v_add_f32_e32 v2, v2, v4
	ds_bpermute_b32 v4, v5, v2
	s_wait_dscnt 0x0
	v_add_f32_e32 v2, v2, v4
	v_and_b32_e32 v4, 31, v0
	ds_bpermute_b32 v3, v3, v2
	s_wait_dscnt 0x0
	v_add_f32_e32 v2, v2, v3
	v_cmpx_eq_u32_e32 0, v4
; %bb.7:
	v_lshrrev_b32_e32 v3, 3, v0
	ds_store_b32 v3, v2
; %bb.8:
	s_or_b32 exec_lo, exec_lo, s8
	v_cmp_eq_u32_e32 vcc_lo, 0, v0
	s_wait_dscnt 0x0
	s_barrier_signal -1
	s_barrier_wait -1
	s_and_saveexec_b32 s8, vcc_lo
	s_cbranch_execz .LBB6_10
; %bb.9:
	v_mov_b32_e32 v3, 0
	ds_load_2addr_b32 v[4:5], v3 offset0:1 offset1:2
	ds_load_b32 v6, v3 offset:12
	s_wait_dscnt 0x1
	v_add_f32_e32 v2, v2, v4
	s_delay_alu instid0(VALU_DEP_1) | instskip(SKIP_1) | instid1(VALU_DEP_1)
	v_add_f32_e32 v2, v2, v5
	s_wait_dscnt 0x0
	v_add_f32_e32 v2, v2, v6
	ds_store_b32 v3, v2
.LBB6_10:
	s_or_b32 exec_lo, exec_lo, s8
	s_wait_dscnt 0x0
	s_barrier_signal -1
	s_barrier_wait -1
	s_and_saveexec_b32 s12, vcc_lo
	s_cbranch_execz .LBB6_17
; %bb.11:
	v_mov_b32_e32 v4, 0
	s_load_b128 s[24:27], s[0:1], 0x58
	s_wait_xcnt 0x0
	s_lshl_b64 s[0:1], s[14:15], 2
	s_delay_alu instid0(SALU_CYCLE_1) | instskip(SKIP_4) | instid1(SALU_CYCLE_1)
	s_add_nc_u64 s[6:7], s[6:7], s[0:1]
	ds_load_b32 v3, v4
	s_mov_b32 s0, 0
	s_wait_kmcnt 0x0
	s_mul_u64 s[8:9], s[26:27], s[16:17]
	s_lshl_b64 s[8:9], s[8:9], 2
	s_cmp_eq_u64 s[10:11], 0
	s_wait_dscnt 0x0
	v_cmp_nlt_f32_e32 vcc_lo, 0, v3
	s_cselect_b32 s1, -1, 0
	s_cmp_lg_u64 s[10:11], 0
	s_add_nc_u64 s[8:9], s[24:25], s[8:9]
	s_cselect_b32 s13, -1, 0
	s_cbranch_vccz .LBB6_21
; %bb.12:
	v_mov_b32_e32 v5, 1.0
	s_mov_b32 s15, 0
	s_and_b32 vcc_lo, exec_lo, s13
	s_mov_b32 s14, 0
                                        ; implicit-def: $vgpr2
	global_store_b32 v4, v4, s[8:9]
	ds_store_b32 v4, v5
	s_cbranch_vccnz .LBB6_22
; %bb.13:
	s_and_b32 vcc_lo, exec_lo, s15
	s_cbranch_vccnz .LBB6_23
.LBB6_14:
	s_and_not1_b32 vcc_lo, exec_lo, s14
	s_cbranch_vccz .LBB6_24
.LBB6_15:
	s_and_not1_b32 vcc_lo, exec_lo, s0
	s_cbranch_vccnz .LBB6_17
.LBB6_16:
	s_wait_xcnt 0x0
	v_mov_b32_e32 v3, 0
	s_wait_loadcnt_dscnt 0x0
	flat_store_b32 v3, v2, s[6:7]
.LBB6_17:
	s_wait_xcnt 0x0
	s_or_b32 exec_lo, exec_lo, s12
	s_wait_storecnt 0x0
	s_wait_loadcnt_dscnt 0x0
	s_barrier_signal -1
	s_barrier_wait -1
	s_and_saveexec_b32 s0, s2
	s_cbranch_execz .LBB6_20
; %bb.18:
	v_mov_b32_e32 v2, 0
	s_lshl_b32 s0, s22, 7
	s_mov_b32 s1, 0
	ds_load_b32 v2, v2
.LBB6_19:                               ; =>This Inner Loop Header: Depth=1
	flat_load_b32 v3, v1, s[4:5] scale_offset
	s_wait_loadcnt_dscnt 0x0
	v_dual_mul_f32 v3, v2, v3 :: v_dual_add_nc_u32 v0, 0x80, v0
	s_delay_alu instid0(VALU_DEP_1) | instskip(SKIP_4) | instid1(SALU_CYCLE_1)
	v_cmp_le_i32_e32 vcc_lo, s3, v0
	flat_store_b32 v1, v3, s[4:5] scale_offset
	s_wait_xcnt 0x0
	v_add_nc_u32_e32 v1, s0, v1
	s_or_b32 s1, vcc_lo, s1
	s_and_not1_b32 exec_lo, exec_lo, s1
	s_cbranch_execnz .LBB6_19
.LBB6_20:
	s_endpgm
.LBB6_21:
	s_mov_b32 s14, 0
                                        ; implicit-def: $vgpr2
	s_cbranch_execz .LBB6_14
	s_branch .LBB6_23
.LBB6_22:
	v_mov_b32_e32 v2, 0
	s_mov_b32 s14, -1
	flat_load_b32 v2, v2, s[6:7]
	s_and_b32 vcc_lo, exec_lo, s15
	s_cbranch_vccz .LBB6_14
.LBB6_23:
	s_wait_xcnt 0x0
	v_mov_b32_e32 v4, 0
	s_mov_b32 s14, s13
	flat_load_b32 v5, v4, s[6:7]
	s_wait_loadcnt_dscnt 0x0
	v_fmac_f32_e32 v3, v5, v5
	s_delay_alu instid0(VALU_DEP_1) | instskip(SKIP_1) | instid1(VALU_DEP_2)
	v_mul_f32_e32 v2, 0x4f800000, v3
	v_cmp_gt_f32_e32 vcc_lo, 0xf800000, v3
	v_cndmask_b32_e32 v2, v3, v2, vcc_lo
	s_delay_alu instid0(VALU_DEP_1) | instskip(SKIP_1) | instid1(TRANS32_DEP_1)
	v_sqrt_f32_e32 v3, v2
	v_nop
	v_dual_add_nc_u32 v6, -1, v3 :: v_dual_add_nc_u32 v7, 1, v3
	s_delay_alu instid0(VALU_DEP_1) | instskip(NEXT) | instid1(VALU_DEP_1)
	v_dual_fma_f32 v8, -v6, v3, v2 :: v_dual_fma_f32 v9, -v7, v3, v2
	v_cmp_ge_f32_e64 s0, 0, v8
	s_delay_alu instid0(VALU_DEP_1) | instskip(NEXT) | instid1(VALU_DEP_3)
	v_cndmask_b32_e64 v3, v3, v6, s0
	v_cmp_lt_f32_e64 s0, 0, v9
	s_delay_alu instid0(VALU_DEP_1) | instskip(SKIP_1) | instid1(VALU_DEP_1)
	v_cndmask_b32_e64 v3, v3, v7, s0
	s_mov_b32 s0, s1
	v_mul_f32_e32 v6, 0x37800000, v3
	s_delay_alu instid0(VALU_DEP_1) | instskip(SKIP_1) | instid1(VALU_DEP_2)
	v_cndmask_b32_e32 v3, v3, v6, vcc_lo
	v_cmp_class_f32_e64 vcc_lo, v2, 0x260
	v_cndmask_b32_e32 v2, v3, v2, vcc_lo
	v_cmp_le_f32_e32 vcc_lo, 0, v5
	s_delay_alu instid0(VALU_DEP_2) | instskip(NEXT) | instid1(VALU_DEP_1)
	v_cndmask_b32_e64 v2, v2, -v2, vcc_lo
	v_sub_f32_e32 v3, v5, v2
	s_delay_alu instid0(VALU_DEP_1) | instskip(SKIP_1) | instid1(VALU_DEP_2)
	v_div_scale_f32 v5, null, v3, v3, 1.0
	v_div_scale_f32 v8, vcc_lo, 1.0, v3, 1.0
	v_rcp_f32_e32 v6, v5
	v_nop
	s_delay_alu instid0(TRANS32_DEP_1) | instskip(NEXT) | instid1(VALU_DEP_1)
	v_fma_f32 v7, -v5, v6, 1.0
	v_fmac_f32_e32 v6, v7, v6
	s_delay_alu instid0(VALU_DEP_1) | instskip(NEXT) | instid1(VALU_DEP_1)
	v_mul_f32_e32 v7, v8, v6
	v_fma_f32 v9, -v5, v7, v8
	s_delay_alu instid0(VALU_DEP_1) | instskip(NEXT) | instid1(VALU_DEP_1)
	v_fmac_f32_e32 v7, v9, v6
	v_fma_f32 v5, -v5, v7, v8
	s_delay_alu instid0(VALU_DEP_1) | instskip(NEXT) | instid1(VALU_DEP_1)
	v_div_fmas_f32 v5, v5, v6, v7
	v_div_fixup_f32 v3, v5, v3, 1.0
	ds_store_b32 v4, v3
	flat_load_b32 v3, v4, s[6:7]
	s_wait_loadcnt_dscnt 0x0
	v_sub_f32_e32 v3, v2, v3
	s_delay_alu instid0(VALU_DEP_1) | instskip(NEXT) | instid1(VALU_DEP_1)
	v_div_scale_f32 v5, null, v2, v2, v3
	v_rcp_f32_e32 v6, v5
	v_nop
	s_delay_alu instid0(TRANS32_DEP_1) | instskip(NEXT) | instid1(VALU_DEP_1)
	v_fma_f32 v7, -v5, v6, 1.0
	v_fmac_f32_e32 v6, v7, v6
	v_div_scale_f32 v7, vcc_lo, v3, v2, v3
	s_delay_alu instid0(VALU_DEP_1) | instskip(NEXT) | instid1(VALU_DEP_1)
	v_mul_f32_e32 v8, v7, v6
	v_fma_f32 v9, -v5, v8, v7
	s_delay_alu instid0(VALU_DEP_1) | instskip(NEXT) | instid1(VALU_DEP_1)
	v_fmac_f32_e32 v8, v9, v6
	v_fma_f32 v5, -v5, v8, v7
	s_delay_alu instid0(VALU_DEP_1) | instskip(NEXT) | instid1(VALU_DEP_1)
	v_div_fmas_f32 v5, v5, v6, v8
	v_div_fixup_f32 v3, v5, v2, v3
	global_store_b32 v4, v3, s[8:9]
	s_and_not1_b32 vcc_lo, exec_lo, s14
	s_cbranch_vccnz .LBB6_15
.LBB6_24:
	s_wait_xcnt 0x0
	v_mov_b32_e32 v3, 0
	s_wait_loadcnt_dscnt 0x0
	global_store_b32 v3, v2, s[10:11]
	s_wait_xcnt 0x0
	v_mov_b32_e32 v2, 1.0
	s_branch .LBB6_16
	.section	.rodata,"a",@progbits
	.p2align	6, 0x0
	.amdhsa_kernel _ZN9rocsolver6v33100L18larfg_kernel_smallILi128EfifPKPfEEvT1_T3_llPT2_llS6_lS5_lPT0_l
		.amdhsa_group_segment_fixed_size 16
		.amdhsa_private_segment_fixed_size 0
		.amdhsa_kernarg_size 104
		.amdhsa_user_sgpr_count 2
		.amdhsa_user_sgpr_dispatch_ptr 0
		.amdhsa_user_sgpr_queue_ptr 0
		.amdhsa_user_sgpr_kernarg_segment_ptr 1
		.amdhsa_user_sgpr_dispatch_id 0
		.amdhsa_user_sgpr_kernarg_preload_length 0
		.amdhsa_user_sgpr_kernarg_preload_offset 0
		.amdhsa_user_sgpr_private_segment_size 0
		.amdhsa_wavefront_size32 1
		.amdhsa_uses_dynamic_stack 0
		.amdhsa_enable_private_segment 0
		.amdhsa_system_sgpr_workgroup_id_x 1
		.amdhsa_system_sgpr_workgroup_id_y 0
		.amdhsa_system_sgpr_workgroup_id_z 1
		.amdhsa_system_sgpr_workgroup_info 0
		.amdhsa_system_vgpr_workitem_id 0
		.amdhsa_next_free_vgpr 10
		.amdhsa_next_free_sgpr 28
		.amdhsa_named_barrier_count 0
		.amdhsa_reserve_vcc 1
		.amdhsa_float_round_mode_32 0
		.amdhsa_float_round_mode_16_64 0
		.amdhsa_float_denorm_mode_32 3
		.amdhsa_float_denorm_mode_16_64 3
		.amdhsa_fp16_overflow 0
		.amdhsa_memory_ordered 1
		.amdhsa_forward_progress 1
		.amdhsa_inst_pref_size 12
		.amdhsa_round_robin_scheduling 0
		.amdhsa_exception_fp_ieee_invalid_op 0
		.amdhsa_exception_fp_denorm_src 0
		.amdhsa_exception_fp_ieee_div_zero 0
		.amdhsa_exception_fp_ieee_overflow 0
		.amdhsa_exception_fp_ieee_underflow 0
		.amdhsa_exception_fp_ieee_inexact 0
		.amdhsa_exception_int_div_zero 0
	.end_amdhsa_kernel
	.section	.text._ZN9rocsolver6v33100L18larfg_kernel_smallILi128EfifPKPfEEvT1_T3_llPT2_llS6_lS5_lPT0_l,"axG",@progbits,_ZN9rocsolver6v33100L18larfg_kernel_smallILi128EfifPKPfEEvT1_T3_llPT2_llS6_lS5_lPT0_l,comdat
.Lfunc_end6:
	.size	_ZN9rocsolver6v33100L18larfg_kernel_smallILi128EfifPKPfEEvT1_T3_llPT2_llS6_lS5_lPT0_l, .Lfunc_end6-_ZN9rocsolver6v33100L18larfg_kernel_smallILi128EfifPKPfEEvT1_T3_llPT2_llS6_lS5_lPT0_l
                                        ; -- End function
	.set _ZN9rocsolver6v33100L18larfg_kernel_smallILi128EfifPKPfEEvT1_T3_llPT2_llS6_lS5_lPT0_l.num_vgpr, 10
	.set _ZN9rocsolver6v33100L18larfg_kernel_smallILi128EfifPKPfEEvT1_T3_llPT2_llS6_lS5_lPT0_l.num_agpr, 0
	.set _ZN9rocsolver6v33100L18larfg_kernel_smallILi128EfifPKPfEEvT1_T3_llPT2_llS6_lS5_lPT0_l.numbered_sgpr, 28
	.set _ZN9rocsolver6v33100L18larfg_kernel_smallILi128EfifPKPfEEvT1_T3_llPT2_llS6_lS5_lPT0_l.num_named_barrier, 0
	.set _ZN9rocsolver6v33100L18larfg_kernel_smallILi128EfifPKPfEEvT1_T3_llPT2_llS6_lS5_lPT0_l.private_seg_size, 0
	.set _ZN9rocsolver6v33100L18larfg_kernel_smallILi128EfifPKPfEEvT1_T3_llPT2_llS6_lS5_lPT0_l.uses_vcc, 1
	.set _ZN9rocsolver6v33100L18larfg_kernel_smallILi128EfifPKPfEEvT1_T3_llPT2_llS6_lS5_lPT0_l.uses_flat_scratch, 0
	.set _ZN9rocsolver6v33100L18larfg_kernel_smallILi128EfifPKPfEEvT1_T3_llPT2_llS6_lS5_lPT0_l.has_dyn_sized_stack, 0
	.set _ZN9rocsolver6v33100L18larfg_kernel_smallILi128EfifPKPfEEvT1_T3_llPT2_llS6_lS5_lPT0_l.has_recursion, 0
	.set _ZN9rocsolver6v33100L18larfg_kernel_smallILi128EfifPKPfEEvT1_T3_llPT2_llS6_lS5_lPT0_l.has_indirect_call, 0
	.section	.AMDGPU.csdata,"",@progbits
; Kernel info:
; codeLenInByte = 1412
; TotalNumSgprs: 30
; NumVgprs: 10
; ScratchSize: 0
; MemoryBound: 0
; FloatMode: 240
; IeeeMode: 1
; LDSByteSize: 16 bytes/workgroup (compile time only)
; SGPRBlocks: 0
; VGPRBlocks: 0
; NumSGPRsForWavesPerEU: 30
; NumVGPRsForWavesPerEU: 10
; NamedBarCnt: 0
; Occupancy: 16
; WaveLimiterHint : 1
; COMPUTE_PGM_RSRC2:SCRATCH_EN: 0
; COMPUTE_PGM_RSRC2:USER_SGPR: 2
; COMPUTE_PGM_RSRC2:TRAP_HANDLER: 0
; COMPUTE_PGM_RSRC2:TGID_X_EN: 1
; COMPUTE_PGM_RSRC2:TGID_Y_EN: 0
; COMPUTE_PGM_RSRC2:TGID_Z_EN: 1
; COMPUTE_PGM_RSRC2:TIDIG_COMP_CNT: 0
	.section	.text._ZN9rocsolver6v33100L18larfg_kernel_smallILi256EfifPKPfEEvT1_T3_llPT2_llS6_lS5_lPT0_l,"axG",@progbits,_ZN9rocsolver6v33100L18larfg_kernel_smallILi256EfifPKPfEEvT1_T3_llPT2_llS6_lS5_lPT0_l,comdat
	.globl	_ZN9rocsolver6v33100L18larfg_kernel_smallILi256EfifPKPfEEvT1_T3_llPT2_llS6_lS5_lPT0_l ; -- Begin function _ZN9rocsolver6v33100L18larfg_kernel_smallILi256EfifPKPfEEvT1_T3_llPT2_llS6_lS5_lPT0_l
	.p2align	8
	.type	_ZN9rocsolver6v33100L18larfg_kernel_smallILi256EfifPKPfEEvT1_T3_llPT2_llS6_lS5_lPT0_l,@function
_ZN9rocsolver6v33100L18larfg_kernel_smallILi256EfifPKPfEEvT1_T3_llPT2_llS6_lS5_lPT0_l: ; @_ZN9rocsolver6v33100L18larfg_kernel_smallILi256EfifPKPfEEvT1_T3_llPT2_llS6_lS5_lPT0_l
; %bb.0:
	s_load_b256 s[4:11], s[0:1], 0x20
	s_bfe_u32 s2, ttmp6, 0x40014
	s_lshr_b32 s3, ttmp7, 16
	s_add_co_i32 s2, s2, 1
	s_bfe_u32 s12, ttmp6, 0x40008
	s_mul_i32 s2, s3, s2
	s_getreg_b32 s13, hwreg(HW_REG_IB_STS2, 6, 4)
	s_add_co_i32 s2, s12, s2
	s_cmp_eq_u32 s13, 0
	s_load_b128 s[12:15], s[0:1], 0x8
	s_cselect_b32 s16, s3, s2
	s_mov_b32 s17, 0
	s_load_b64 s[18:19], s[0:1], 0x40
	s_wait_kmcnt 0x0
	s_load_b64 s[20:21], s[10:11], s16 offset:0x0 scale_offset
	s_cmp_eq_u64 s[4:5], 0
	s_wait_xcnt 0x0
	s_mov_b64 s[10:11], 0
	s_cbranch_scc1 .LBB7_2
; %bb.1:
	s_mul_u64 s[2:3], s[8:9], s[16:17]
	s_delay_alu instid0(SALU_CYCLE_1) | instskip(NEXT) | instid1(SALU_CYCLE_1)
	s_lshl_b64 s[2:3], s[2:3], 2
	s_add_nc_u64 s[2:3], s[4:5], s[2:3]
	s_lshl_b64 s[4:5], s[6:7], 2
	s_delay_alu instid0(SALU_CYCLE_1)
	s_add_nc_u64 s[10:11], s[2:3], s[4:5]
.LBB7_2:
	s_clause 0x1
	s_load_b32 s22, s[0:1], 0x48
	s_load_b32 s3, s[0:1], 0x0
	s_load_b64 s[6:7], s[12:13], s16 offset:0x0 scale_offset
	v_mov_b32_e32 v2, 0
	s_lshl_b64 s[4:5], s[18:19], 2
	s_wait_kmcnt 0x0
	s_add_nc_u64 s[4:5], s[20:21], s[4:5]
	v_mul_lo_u32 v1, v0, s22
	s_add_co_i32 s3, s3, -1
	s_delay_alu instid0(SALU_CYCLE_1)
	v_cmp_gt_i32_e64 s2, s3, v0
	s_and_saveexec_b32 s8, s2
	s_cbranch_execz .LBB7_6
; %bb.3:
	v_mul_lo_u32 v3, v0, s22
	v_dual_mov_b32 v2, 0 :: v_dual_mov_b32 v4, v0
	s_lshl_b32 s12, s22, 8
	s_mov_b32 s9, 0
.LBB7_4:                                ; =>This Inner Loop Header: Depth=1
	flat_load_b32 v5, v3, s[4:5] scale_offset
	v_add_nc_u32_e32 v4, 0x100, v4
	s_wait_xcnt 0x0
	v_add_nc_u32_e32 v3, s12, v3
	s_delay_alu instid0(VALU_DEP_2)
	v_cmp_le_i32_e32 vcc_lo, s3, v4
	s_or_b32 s9, vcc_lo, s9
	s_wait_loadcnt_dscnt 0x0
	v_fmac_f32_e32 v2, v5, v5
	s_and_not1_b32 exec_lo, exec_lo, s9
	s_cbranch_execnz .LBB7_4
; %bb.5:
	s_or_b32 exec_lo, exec_lo, s9
.LBB7_6:
	s_delay_alu instid0(SALU_CYCLE_1) | instskip(SKIP_2) | instid1(VALU_DEP_1)
	s_or_b32 exec_lo, exec_lo, s8
	v_mbcnt_lo_u32_b32 v3, -1, 0
	s_mov_b32 s8, exec_lo
	v_cmp_ne_u32_e32 vcc_lo, 31, v3
	v_add_co_ci_u32_e64 v4, null, 0, v3, vcc_lo
	v_cmp_gt_u32_e32 vcc_lo, 30, v3
	s_delay_alu instid0(VALU_DEP_2)
	v_lshlrev_b32_e32 v4, 2, v4
	v_cndmask_b32_e64 v5, 0, 2, vcc_lo
	v_cmp_gt_u32_e32 vcc_lo, 28, v3
	ds_bpermute_b32 v4, v4, v2
	v_add_lshl_u32 v5, v5, v3, 2
	s_wait_dscnt 0x0
	v_add_f32_e32 v2, v2, v4
	ds_bpermute_b32 v4, v5, v2
	v_cndmask_b32_e64 v5, 0, 4, vcc_lo
	v_cmp_gt_u32_e32 vcc_lo, 24, v3
	s_delay_alu instid0(VALU_DEP_2) | instskip(SKIP_4) | instid1(VALU_DEP_1)
	v_add_lshl_u32 v5, v5, v3, 2
	s_wait_dscnt 0x0
	v_add_f32_e32 v2, v2, v4
	ds_bpermute_b32 v4, v5, v2
	v_cndmask_b32_e64 v5, 0, 8, vcc_lo
	v_add_lshl_u32 v5, v5, v3, 2
	v_lshl_or_b32 v3, v3, 2, 64
	s_wait_dscnt 0x0
	v_add_f32_e32 v2, v2, v4
	ds_bpermute_b32 v4, v5, v2
	s_wait_dscnt 0x0
	v_add_f32_e32 v2, v2, v4
	v_and_b32_e32 v4, 31, v0
	ds_bpermute_b32 v3, v3, v2
	s_wait_dscnt 0x0
	v_add_f32_e32 v2, v2, v3
	v_cmpx_eq_u32_e32 0, v4
; %bb.7:
	v_lshrrev_b32_e32 v3, 3, v0
	ds_store_b32 v3, v2
; %bb.8:
	s_or_b32 exec_lo, exec_lo, s8
	v_cmp_eq_u32_e32 vcc_lo, 0, v0
	s_wait_dscnt 0x0
	s_barrier_signal -1
	s_barrier_wait -1
	s_and_saveexec_b32 s8, vcc_lo
	s_cbranch_execz .LBB7_10
; %bb.9:
	v_mov_b32_e32 v3, 0
	ds_load_2addr_b32 v[4:5], v3 offset0:1 offset1:2
	ds_load_2addr_b32 v[6:7], v3 offset0:3 offset1:4
	;; [unrolled: 1-line block ×3, first 2 shown]
	ds_load_b32 v10, v3 offset:28
	s_wait_dscnt 0x3
	v_add_f32_e32 v2, v2, v4
	s_delay_alu instid0(VALU_DEP_1) | instskip(SKIP_1) | instid1(VALU_DEP_1)
	v_add_f32_e32 v2, v2, v5
	s_wait_dscnt 0x2
	v_add_f32_e32 v2, v2, v6
	s_delay_alu instid0(VALU_DEP_1) | instskip(SKIP_1) | instid1(VALU_DEP_1)
	v_add_f32_e32 v2, v2, v7
	;; [unrolled: 4-line block ×3, first 2 shown]
	s_wait_dscnt 0x0
	v_add_f32_e32 v2, v2, v10
	ds_store_b32 v3, v2
.LBB7_10:
	s_or_b32 exec_lo, exec_lo, s8
	s_wait_dscnt 0x0
	s_barrier_signal -1
	s_barrier_wait -1
	s_and_saveexec_b32 s12, vcc_lo
	s_cbranch_execz .LBB7_17
; %bb.11:
	v_mov_b32_e32 v4, 0
	s_load_b128 s[24:27], s[0:1], 0x58
	s_wait_xcnt 0x0
	s_lshl_b64 s[0:1], s[14:15], 2
	s_delay_alu instid0(SALU_CYCLE_1) | instskip(SKIP_4) | instid1(SALU_CYCLE_1)
	s_add_nc_u64 s[6:7], s[6:7], s[0:1]
	ds_load_b32 v3, v4
	s_mov_b32 s0, 0
	s_wait_kmcnt 0x0
	s_mul_u64 s[8:9], s[26:27], s[16:17]
	s_lshl_b64 s[8:9], s[8:9], 2
	s_cmp_eq_u64 s[10:11], 0
	s_wait_dscnt 0x0
	v_cmp_nlt_f32_e32 vcc_lo, 0, v3
	s_cselect_b32 s1, -1, 0
	s_cmp_lg_u64 s[10:11], 0
	s_add_nc_u64 s[8:9], s[24:25], s[8:9]
	s_cselect_b32 s13, -1, 0
	s_cbranch_vccz .LBB7_21
; %bb.12:
	v_mov_b32_e32 v5, 1.0
	s_mov_b32 s15, 0
	s_and_b32 vcc_lo, exec_lo, s13
	s_mov_b32 s14, 0
                                        ; implicit-def: $vgpr2
	global_store_b32 v4, v4, s[8:9]
	ds_store_b32 v4, v5
	s_cbranch_vccnz .LBB7_22
; %bb.13:
	s_and_b32 vcc_lo, exec_lo, s15
	s_cbranch_vccnz .LBB7_23
.LBB7_14:
	s_and_not1_b32 vcc_lo, exec_lo, s14
	s_cbranch_vccz .LBB7_24
.LBB7_15:
	s_and_not1_b32 vcc_lo, exec_lo, s0
	s_cbranch_vccnz .LBB7_17
.LBB7_16:
	s_wait_xcnt 0x0
	v_mov_b32_e32 v3, 0
	s_wait_loadcnt_dscnt 0x0
	flat_store_b32 v3, v2, s[6:7]
.LBB7_17:
	s_wait_xcnt 0x0
	s_or_b32 exec_lo, exec_lo, s12
	s_wait_storecnt 0x0
	s_wait_loadcnt_dscnt 0x0
	s_barrier_signal -1
	s_barrier_wait -1
	s_and_saveexec_b32 s0, s2
	s_cbranch_execz .LBB7_20
; %bb.18:
	v_mov_b32_e32 v2, 0
	s_lshl_b32 s0, s22, 8
	s_mov_b32 s1, 0
	ds_load_b32 v2, v2
.LBB7_19:                               ; =>This Inner Loop Header: Depth=1
	flat_load_b32 v3, v1, s[4:5] scale_offset
	s_wait_loadcnt_dscnt 0x0
	v_dual_mul_f32 v3, v2, v3 :: v_dual_add_nc_u32 v0, 0x100, v0
	s_delay_alu instid0(VALU_DEP_1) | instskip(SKIP_4) | instid1(SALU_CYCLE_1)
	v_cmp_le_i32_e32 vcc_lo, s3, v0
	flat_store_b32 v1, v3, s[4:5] scale_offset
	s_wait_xcnt 0x0
	v_add_nc_u32_e32 v1, s0, v1
	s_or_b32 s1, vcc_lo, s1
	s_and_not1_b32 exec_lo, exec_lo, s1
	s_cbranch_execnz .LBB7_19
.LBB7_20:
	s_endpgm
.LBB7_21:
	s_mov_b32 s14, 0
                                        ; implicit-def: $vgpr2
	s_cbranch_execz .LBB7_14
	s_branch .LBB7_23
.LBB7_22:
	v_mov_b32_e32 v2, 0
	s_mov_b32 s14, -1
	flat_load_b32 v2, v2, s[6:7]
	s_and_b32 vcc_lo, exec_lo, s15
	s_cbranch_vccz .LBB7_14
.LBB7_23:
	s_wait_xcnt 0x0
	v_mov_b32_e32 v4, 0
	s_mov_b32 s14, s13
	flat_load_b32 v5, v4, s[6:7]
	s_wait_loadcnt_dscnt 0x0
	v_fmac_f32_e32 v3, v5, v5
	s_delay_alu instid0(VALU_DEP_1) | instskip(SKIP_1) | instid1(VALU_DEP_2)
	v_mul_f32_e32 v2, 0x4f800000, v3
	v_cmp_gt_f32_e32 vcc_lo, 0xf800000, v3
	v_cndmask_b32_e32 v2, v3, v2, vcc_lo
	s_delay_alu instid0(VALU_DEP_1) | instskip(SKIP_1) | instid1(TRANS32_DEP_1)
	v_sqrt_f32_e32 v3, v2
	v_nop
	v_dual_add_nc_u32 v6, -1, v3 :: v_dual_add_nc_u32 v7, 1, v3
	s_delay_alu instid0(VALU_DEP_1) | instskip(NEXT) | instid1(VALU_DEP_1)
	v_dual_fma_f32 v8, -v6, v3, v2 :: v_dual_fma_f32 v9, -v7, v3, v2
	v_cmp_ge_f32_e64 s0, 0, v8
	s_delay_alu instid0(VALU_DEP_1) | instskip(NEXT) | instid1(VALU_DEP_3)
	v_cndmask_b32_e64 v3, v3, v6, s0
	v_cmp_lt_f32_e64 s0, 0, v9
	s_delay_alu instid0(VALU_DEP_1) | instskip(SKIP_1) | instid1(VALU_DEP_1)
	v_cndmask_b32_e64 v3, v3, v7, s0
	s_mov_b32 s0, s1
	v_mul_f32_e32 v6, 0x37800000, v3
	s_delay_alu instid0(VALU_DEP_1) | instskip(SKIP_1) | instid1(VALU_DEP_2)
	v_cndmask_b32_e32 v3, v3, v6, vcc_lo
	v_cmp_class_f32_e64 vcc_lo, v2, 0x260
	v_cndmask_b32_e32 v2, v3, v2, vcc_lo
	v_cmp_le_f32_e32 vcc_lo, 0, v5
	s_delay_alu instid0(VALU_DEP_2) | instskip(NEXT) | instid1(VALU_DEP_1)
	v_cndmask_b32_e64 v2, v2, -v2, vcc_lo
	v_sub_f32_e32 v3, v5, v2
	s_delay_alu instid0(VALU_DEP_1) | instskip(SKIP_1) | instid1(VALU_DEP_2)
	v_div_scale_f32 v5, null, v3, v3, 1.0
	v_div_scale_f32 v8, vcc_lo, 1.0, v3, 1.0
	v_rcp_f32_e32 v6, v5
	v_nop
	s_delay_alu instid0(TRANS32_DEP_1) | instskip(NEXT) | instid1(VALU_DEP_1)
	v_fma_f32 v7, -v5, v6, 1.0
	v_fmac_f32_e32 v6, v7, v6
	s_delay_alu instid0(VALU_DEP_1) | instskip(NEXT) | instid1(VALU_DEP_1)
	v_mul_f32_e32 v7, v8, v6
	v_fma_f32 v9, -v5, v7, v8
	s_delay_alu instid0(VALU_DEP_1) | instskip(NEXT) | instid1(VALU_DEP_1)
	v_fmac_f32_e32 v7, v9, v6
	v_fma_f32 v5, -v5, v7, v8
	s_delay_alu instid0(VALU_DEP_1) | instskip(NEXT) | instid1(VALU_DEP_1)
	v_div_fmas_f32 v5, v5, v6, v7
	v_div_fixup_f32 v3, v5, v3, 1.0
	ds_store_b32 v4, v3
	flat_load_b32 v3, v4, s[6:7]
	s_wait_loadcnt_dscnt 0x0
	v_sub_f32_e32 v3, v2, v3
	s_delay_alu instid0(VALU_DEP_1) | instskip(NEXT) | instid1(VALU_DEP_1)
	v_div_scale_f32 v5, null, v2, v2, v3
	v_rcp_f32_e32 v6, v5
	v_nop
	s_delay_alu instid0(TRANS32_DEP_1) | instskip(NEXT) | instid1(VALU_DEP_1)
	v_fma_f32 v7, -v5, v6, 1.0
	v_fmac_f32_e32 v6, v7, v6
	v_div_scale_f32 v7, vcc_lo, v3, v2, v3
	s_delay_alu instid0(VALU_DEP_1) | instskip(NEXT) | instid1(VALU_DEP_1)
	v_mul_f32_e32 v8, v7, v6
	v_fma_f32 v9, -v5, v8, v7
	s_delay_alu instid0(VALU_DEP_1) | instskip(NEXT) | instid1(VALU_DEP_1)
	v_fmac_f32_e32 v8, v9, v6
	v_fma_f32 v5, -v5, v8, v7
	s_delay_alu instid0(VALU_DEP_1) | instskip(NEXT) | instid1(VALU_DEP_1)
	v_div_fmas_f32 v5, v5, v6, v8
	v_div_fixup_f32 v3, v5, v2, v3
	global_store_b32 v4, v3, s[8:9]
	s_and_not1_b32 vcc_lo, exec_lo, s14
	s_cbranch_vccnz .LBB7_15
.LBB7_24:
	s_wait_xcnt 0x0
	v_mov_b32_e32 v3, 0
	s_wait_loadcnt_dscnt 0x0
	global_store_b32 v3, v2, s[10:11]
	s_wait_xcnt 0x0
	v_mov_b32_e32 v2, 1.0
	s_branch .LBB7_16
	.section	.rodata,"a",@progbits
	.p2align	6, 0x0
	.amdhsa_kernel _ZN9rocsolver6v33100L18larfg_kernel_smallILi256EfifPKPfEEvT1_T3_llPT2_llS6_lS5_lPT0_l
		.amdhsa_group_segment_fixed_size 32
		.amdhsa_private_segment_fixed_size 0
		.amdhsa_kernarg_size 104
		.amdhsa_user_sgpr_count 2
		.amdhsa_user_sgpr_dispatch_ptr 0
		.amdhsa_user_sgpr_queue_ptr 0
		.amdhsa_user_sgpr_kernarg_segment_ptr 1
		.amdhsa_user_sgpr_dispatch_id 0
		.amdhsa_user_sgpr_kernarg_preload_length 0
		.amdhsa_user_sgpr_kernarg_preload_offset 0
		.amdhsa_user_sgpr_private_segment_size 0
		.amdhsa_wavefront_size32 1
		.amdhsa_uses_dynamic_stack 0
		.amdhsa_enable_private_segment 0
		.amdhsa_system_sgpr_workgroup_id_x 1
		.amdhsa_system_sgpr_workgroup_id_y 0
		.amdhsa_system_sgpr_workgroup_id_z 1
		.amdhsa_system_sgpr_workgroup_info 0
		.amdhsa_system_vgpr_workitem_id 0
		.amdhsa_next_free_vgpr 11
		.amdhsa_next_free_sgpr 28
		.amdhsa_named_barrier_count 0
		.amdhsa_reserve_vcc 1
		.amdhsa_float_round_mode_32 0
		.amdhsa_float_round_mode_16_64 0
		.amdhsa_float_denorm_mode_32 3
		.amdhsa_float_denorm_mode_16_64 3
		.amdhsa_fp16_overflow 0
		.amdhsa_memory_ordered 1
		.amdhsa_forward_progress 1
		.amdhsa_inst_pref_size 12
		.amdhsa_round_robin_scheduling 0
		.amdhsa_exception_fp_ieee_invalid_op 0
		.amdhsa_exception_fp_denorm_src 0
		.amdhsa_exception_fp_ieee_div_zero 0
		.amdhsa_exception_fp_ieee_overflow 0
		.amdhsa_exception_fp_ieee_underflow 0
		.amdhsa_exception_fp_ieee_inexact 0
		.amdhsa_exception_int_div_zero 0
	.end_amdhsa_kernel
	.section	.text._ZN9rocsolver6v33100L18larfg_kernel_smallILi256EfifPKPfEEvT1_T3_llPT2_llS6_lS5_lPT0_l,"axG",@progbits,_ZN9rocsolver6v33100L18larfg_kernel_smallILi256EfifPKPfEEvT1_T3_llPT2_llS6_lS5_lPT0_l,comdat
.Lfunc_end7:
	.size	_ZN9rocsolver6v33100L18larfg_kernel_smallILi256EfifPKPfEEvT1_T3_llPT2_llS6_lS5_lPT0_l, .Lfunc_end7-_ZN9rocsolver6v33100L18larfg_kernel_smallILi256EfifPKPfEEvT1_T3_llPT2_llS6_lS5_lPT0_l
                                        ; -- End function
	.set _ZN9rocsolver6v33100L18larfg_kernel_smallILi256EfifPKPfEEvT1_T3_llPT2_llS6_lS5_lPT0_l.num_vgpr, 11
	.set _ZN9rocsolver6v33100L18larfg_kernel_smallILi256EfifPKPfEEvT1_T3_llPT2_llS6_lS5_lPT0_l.num_agpr, 0
	.set _ZN9rocsolver6v33100L18larfg_kernel_smallILi256EfifPKPfEEvT1_T3_llPT2_llS6_lS5_lPT0_l.numbered_sgpr, 28
	.set _ZN9rocsolver6v33100L18larfg_kernel_smallILi256EfifPKPfEEvT1_T3_llPT2_llS6_lS5_lPT0_l.num_named_barrier, 0
	.set _ZN9rocsolver6v33100L18larfg_kernel_smallILi256EfifPKPfEEvT1_T3_llPT2_llS6_lS5_lPT0_l.private_seg_size, 0
	.set _ZN9rocsolver6v33100L18larfg_kernel_smallILi256EfifPKPfEEvT1_T3_llPT2_llS6_lS5_lPT0_l.uses_vcc, 1
	.set _ZN9rocsolver6v33100L18larfg_kernel_smallILi256EfifPKPfEEvT1_T3_llPT2_llS6_lS5_lPT0_l.uses_flat_scratch, 0
	.set _ZN9rocsolver6v33100L18larfg_kernel_smallILi256EfifPKPfEEvT1_T3_llPT2_llS6_lS5_lPT0_l.has_dyn_sized_stack, 0
	.set _ZN9rocsolver6v33100L18larfg_kernel_smallILi256EfifPKPfEEvT1_T3_llPT2_llS6_lS5_lPT0_l.has_recursion, 0
	.set _ZN9rocsolver6v33100L18larfg_kernel_smallILi256EfifPKPfEEvT1_T3_llPT2_llS6_lS5_lPT0_l.has_indirect_call, 0
	.section	.AMDGPU.csdata,"",@progbits
; Kernel info:
; codeLenInByte = 1460
; TotalNumSgprs: 30
; NumVgprs: 11
; ScratchSize: 0
; MemoryBound: 0
; FloatMode: 240
; IeeeMode: 1
; LDSByteSize: 32 bytes/workgroup (compile time only)
; SGPRBlocks: 0
; VGPRBlocks: 0
; NumSGPRsForWavesPerEU: 30
; NumVGPRsForWavesPerEU: 11
; NamedBarCnt: 0
; Occupancy: 16
; WaveLimiterHint : 1
; COMPUTE_PGM_RSRC2:SCRATCH_EN: 0
; COMPUTE_PGM_RSRC2:USER_SGPR: 2
; COMPUTE_PGM_RSRC2:TRAP_HANDLER: 0
; COMPUTE_PGM_RSRC2:TGID_X_EN: 1
; COMPUTE_PGM_RSRC2:TGID_Y_EN: 0
; COMPUTE_PGM_RSRC2:TGID_Z_EN: 1
; COMPUTE_PGM_RSRC2:TIDIG_COMP_CNT: 0
	.section	.text._ZN9rocsolver6v33100L18larfg_kernel_smallILi512EfifPKPfEEvT1_T3_llPT2_llS6_lS5_lPT0_l,"axG",@progbits,_ZN9rocsolver6v33100L18larfg_kernel_smallILi512EfifPKPfEEvT1_T3_llPT2_llS6_lS5_lPT0_l,comdat
	.globl	_ZN9rocsolver6v33100L18larfg_kernel_smallILi512EfifPKPfEEvT1_T3_llPT2_llS6_lS5_lPT0_l ; -- Begin function _ZN9rocsolver6v33100L18larfg_kernel_smallILi512EfifPKPfEEvT1_T3_llPT2_llS6_lS5_lPT0_l
	.p2align	8
	.type	_ZN9rocsolver6v33100L18larfg_kernel_smallILi512EfifPKPfEEvT1_T3_llPT2_llS6_lS5_lPT0_l,@function
_ZN9rocsolver6v33100L18larfg_kernel_smallILi512EfifPKPfEEvT1_T3_llPT2_llS6_lS5_lPT0_l: ; @_ZN9rocsolver6v33100L18larfg_kernel_smallILi512EfifPKPfEEvT1_T3_llPT2_llS6_lS5_lPT0_l
; %bb.0:
	s_load_b256 s[4:11], s[0:1], 0x20
	s_bfe_u32 s2, ttmp6, 0x40014
	s_lshr_b32 s3, ttmp7, 16
	s_add_co_i32 s2, s2, 1
	s_bfe_u32 s12, ttmp6, 0x40008
	s_mul_i32 s2, s3, s2
	s_getreg_b32 s13, hwreg(HW_REG_IB_STS2, 6, 4)
	s_add_co_i32 s2, s12, s2
	s_cmp_eq_u32 s13, 0
	s_load_b128 s[12:15], s[0:1], 0x8
	s_cselect_b32 s16, s3, s2
	s_mov_b32 s17, 0
	s_load_b64 s[18:19], s[0:1], 0x40
	s_wait_kmcnt 0x0
	s_load_b64 s[20:21], s[10:11], s16 offset:0x0 scale_offset
	s_cmp_eq_u64 s[4:5], 0
	s_wait_xcnt 0x0
	s_mov_b64 s[10:11], 0
	s_cbranch_scc1 .LBB8_2
; %bb.1:
	s_mul_u64 s[2:3], s[8:9], s[16:17]
	s_delay_alu instid0(SALU_CYCLE_1) | instskip(NEXT) | instid1(SALU_CYCLE_1)
	s_lshl_b64 s[2:3], s[2:3], 2
	s_add_nc_u64 s[2:3], s[4:5], s[2:3]
	s_lshl_b64 s[4:5], s[6:7], 2
	s_delay_alu instid0(SALU_CYCLE_1)
	s_add_nc_u64 s[10:11], s[2:3], s[4:5]
.LBB8_2:
	s_clause 0x1
	s_load_b32 s22, s[0:1], 0x48
	s_load_b32 s3, s[0:1], 0x0
	s_load_b64 s[6:7], s[12:13], s16 offset:0x0 scale_offset
	v_mov_b32_e32 v2, 0
	s_lshl_b64 s[4:5], s[18:19], 2
	s_wait_kmcnt 0x0
	s_add_nc_u64 s[4:5], s[20:21], s[4:5]
	v_mul_lo_u32 v1, v0, s22
	s_add_co_i32 s3, s3, -1
	s_delay_alu instid0(SALU_CYCLE_1)
	v_cmp_gt_i32_e64 s2, s3, v0
	s_and_saveexec_b32 s8, s2
	s_cbranch_execz .LBB8_6
; %bb.3:
	v_mul_lo_u32 v3, v0, s22
	v_dual_mov_b32 v2, 0 :: v_dual_mov_b32 v4, v0
	s_lshl_b32 s12, s22, 9
	s_mov_b32 s9, 0
.LBB8_4:                                ; =>This Inner Loop Header: Depth=1
	flat_load_b32 v5, v3, s[4:5] scale_offset
	v_add_nc_u32_e32 v4, 0x200, v4
	s_wait_xcnt 0x0
	v_add_nc_u32_e32 v3, s12, v3
	s_delay_alu instid0(VALU_DEP_2)
	v_cmp_le_i32_e32 vcc_lo, s3, v4
	s_or_b32 s9, vcc_lo, s9
	s_wait_loadcnt_dscnt 0x0
	v_fmac_f32_e32 v2, v5, v5
	s_and_not1_b32 exec_lo, exec_lo, s9
	s_cbranch_execnz .LBB8_4
; %bb.5:
	s_or_b32 exec_lo, exec_lo, s9
.LBB8_6:
	s_delay_alu instid0(SALU_CYCLE_1) | instskip(SKIP_2) | instid1(VALU_DEP_1)
	s_or_b32 exec_lo, exec_lo, s8
	v_mbcnt_lo_u32_b32 v3, -1, 0
	s_mov_b32 s8, exec_lo
	v_cmp_ne_u32_e32 vcc_lo, 31, v3
	v_add_co_ci_u32_e64 v4, null, 0, v3, vcc_lo
	v_cmp_gt_u32_e32 vcc_lo, 30, v3
	s_delay_alu instid0(VALU_DEP_2)
	v_lshlrev_b32_e32 v4, 2, v4
	v_cndmask_b32_e64 v5, 0, 2, vcc_lo
	v_cmp_gt_u32_e32 vcc_lo, 28, v3
	ds_bpermute_b32 v4, v4, v2
	v_add_lshl_u32 v5, v5, v3, 2
	s_wait_dscnt 0x0
	v_add_f32_e32 v2, v2, v4
	ds_bpermute_b32 v4, v5, v2
	v_cndmask_b32_e64 v5, 0, 4, vcc_lo
	v_cmp_gt_u32_e32 vcc_lo, 24, v3
	s_delay_alu instid0(VALU_DEP_2) | instskip(SKIP_4) | instid1(VALU_DEP_1)
	v_add_lshl_u32 v5, v5, v3, 2
	s_wait_dscnt 0x0
	v_add_f32_e32 v2, v2, v4
	ds_bpermute_b32 v4, v5, v2
	v_cndmask_b32_e64 v5, 0, 8, vcc_lo
	v_add_lshl_u32 v5, v5, v3, 2
	v_lshl_or_b32 v3, v3, 2, 64
	s_wait_dscnt 0x0
	v_add_f32_e32 v2, v2, v4
	ds_bpermute_b32 v4, v5, v2
	s_wait_dscnt 0x0
	v_add_f32_e32 v2, v2, v4
	v_and_b32_e32 v4, 31, v0
	ds_bpermute_b32 v3, v3, v2
	s_wait_dscnt 0x0
	v_add_f32_e32 v2, v2, v3
	v_cmpx_eq_u32_e32 0, v4
; %bb.7:
	v_lshrrev_b32_e32 v3, 3, v0
	ds_store_b32 v3, v2
; %bb.8:
	s_or_b32 exec_lo, exec_lo, s8
	v_cmp_eq_u32_e32 vcc_lo, 0, v0
	s_wait_dscnt 0x0
	s_barrier_signal -1
	s_barrier_wait -1
	s_and_saveexec_b32 s8, vcc_lo
	s_cbranch_execz .LBB8_10
; %bb.9:
	v_mov_b32_e32 v12, 0
	ds_load_2addr_b32 v[4:5], v12 offset0:1 offset1:2
	ds_load_2addr_b32 v[6:7], v12 offset0:3 offset1:4
	;; [unrolled: 1-line block ×4, first 2 shown]
	s_wait_dscnt 0x3
	v_add_f32_e32 v2, v2, v4
	s_delay_alu instid0(VALU_DEP_1) | instskip(SKIP_1) | instid1(VALU_DEP_1)
	v_add_f32_e32 v2, v2, v5
	s_wait_dscnt 0x2
	v_add_f32_e32 v2, v2, v6
	s_delay_alu instid0(VALU_DEP_1) | instskip(SKIP_1) | instid1(VALU_DEP_1)
	v_add_f32_e32 v2, v2, v7
	s_wait_dscnt 0x1
	v_add_f32_e32 v4, v2, v8
	ds_load_2addr_b32 v[2:3], v12 offset0:9 offset1:10
	v_add_f32_e32 v4, v4, v9
	s_wait_dscnt 0x1
	s_delay_alu instid0(VALU_DEP_1)
	v_add_f32_e32 v6, v4, v10
	ds_load_2addr_b32 v[4:5], v12 offset0:11 offset1:12
	v_add_f32_e32 v8, v6, v11
	ds_load_2addr_b32 v[6:7], v12 offset0:13 offset1:14
	ds_load_b32 v9, v12 offset:60
	s_wait_dscnt 0x3
	v_add_f32_e32 v2, v8, v2
	s_delay_alu instid0(VALU_DEP_1) | instskip(SKIP_1) | instid1(VALU_DEP_1)
	v_add_f32_e32 v2, v2, v3
	s_wait_dscnt 0x2
	v_add_f32_e32 v2, v2, v4
	s_delay_alu instid0(VALU_DEP_1) | instskip(SKIP_1) | instid1(VALU_DEP_1)
	v_add_f32_e32 v2, v2, v5
	;; [unrolled: 4-line block ×3, first 2 shown]
	s_wait_dscnt 0x0
	v_add_f32_e32 v2, v2, v9
	ds_store_b32 v12, v2
.LBB8_10:
	s_or_b32 exec_lo, exec_lo, s8
	s_wait_dscnt 0x0
	s_barrier_signal -1
	s_barrier_wait -1
	s_and_saveexec_b32 s12, vcc_lo
	s_cbranch_execz .LBB8_17
; %bb.11:
	v_mov_b32_e32 v4, 0
	s_load_b128 s[24:27], s[0:1], 0x58
	s_wait_xcnt 0x0
	s_lshl_b64 s[0:1], s[14:15], 2
	s_delay_alu instid0(SALU_CYCLE_1) | instskip(SKIP_4) | instid1(SALU_CYCLE_1)
	s_add_nc_u64 s[6:7], s[6:7], s[0:1]
	ds_load_b32 v3, v4
	s_mov_b32 s0, 0
	s_wait_kmcnt 0x0
	s_mul_u64 s[8:9], s[26:27], s[16:17]
	s_lshl_b64 s[8:9], s[8:9], 2
	s_cmp_eq_u64 s[10:11], 0
	s_wait_dscnt 0x0
	v_cmp_nlt_f32_e32 vcc_lo, 0, v3
	s_cselect_b32 s1, -1, 0
	s_cmp_lg_u64 s[10:11], 0
	s_add_nc_u64 s[8:9], s[24:25], s[8:9]
	s_cselect_b32 s13, -1, 0
	s_cbranch_vccz .LBB8_21
; %bb.12:
	v_mov_b32_e32 v5, 1.0
	s_mov_b32 s15, 0
	s_and_b32 vcc_lo, exec_lo, s13
	s_mov_b32 s14, 0
                                        ; implicit-def: $vgpr2
	global_store_b32 v4, v4, s[8:9]
	ds_store_b32 v4, v5
	s_cbranch_vccnz .LBB8_22
; %bb.13:
	s_and_b32 vcc_lo, exec_lo, s15
	s_cbranch_vccnz .LBB8_23
.LBB8_14:
	s_and_not1_b32 vcc_lo, exec_lo, s14
	s_cbranch_vccz .LBB8_24
.LBB8_15:
	s_and_not1_b32 vcc_lo, exec_lo, s0
	s_cbranch_vccnz .LBB8_17
.LBB8_16:
	s_wait_xcnt 0x0
	v_mov_b32_e32 v3, 0
	s_wait_loadcnt_dscnt 0x0
	flat_store_b32 v3, v2, s[6:7]
.LBB8_17:
	s_wait_xcnt 0x0
	s_or_b32 exec_lo, exec_lo, s12
	s_wait_storecnt 0x0
	s_wait_loadcnt_dscnt 0x0
	s_barrier_signal -1
	s_barrier_wait -1
	s_and_saveexec_b32 s0, s2
	s_cbranch_execz .LBB8_20
; %bb.18:
	v_mov_b32_e32 v2, 0
	s_lshl_b32 s0, s22, 9
	s_mov_b32 s1, 0
	ds_load_b32 v2, v2
.LBB8_19:                               ; =>This Inner Loop Header: Depth=1
	flat_load_b32 v3, v1, s[4:5] scale_offset
	s_wait_loadcnt_dscnt 0x0
	v_dual_mul_f32 v3, v2, v3 :: v_dual_add_nc_u32 v0, 0x200, v0
	s_delay_alu instid0(VALU_DEP_1) | instskip(SKIP_4) | instid1(SALU_CYCLE_1)
	v_cmp_le_i32_e32 vcc_lo, s3, v0
	flat_store_b32 v1, v3, s[4:5] scale_offset
	s_wait_xcnt 0x0
	v_add_nc_u32_e32 v1, s0, v1
	s_or_b32 s1, vcc_lo, s1
	s_and_not1_b32 exec_lo, exec_lo, s1
	s_cbranch_execnz .LBB8_19
.LBB8_20:
	s_endpgm
.LBB8_21:
	s_mov_b32 s14, 0
                                        ; implicit-def: $vgpr2
	s_cbranch_execz .LBB8_14
	s_branch .LBB8_23
.LBB8_22:
	v_mov_b32_e32 v2, 0
	s_mov_b32 s14, -1
	flat_load_b32 v2, v2, s[6:7]
	s_and_b32 vcc_lo, exec_lo, s15
	s_cbranch_vccz .LBB8_14
.LBB8_23:
	s_wait_xcnt 0x0
	v_mov_b32_e32 v4, 0
	s_mov_b32 s14, s13
	flat_load_b32 v5, v4, s[6:7]
	s_wait_loadcnt_dscnt 0x0
	v_fmac_f32_e32 v3, v5, v5
	s_delay_alu instid0(VALU_DEP_1) | instskip(SKIP_1) | instid1(VALU_DEP_2)
	v_mul_f32_e32 v2, 0x4f800000, v3
	v_cmp_gt_f32_e32 vcc_lo, 0xf800000, v3
	v_cndmask_b32_e32 v2, v3, v2, vcc_lo
	s_delay_alu instid0(VALU_DEP_1) | instskip(SKIP_1) | instid1(TRANS32_DEP_1)
	v_sqrt_f32_e32 v3, v2
	v_nop
	v_dual_add_nc_u32 v6, -1, v3 :: v_dual_add_nc_u32 v7, 1, v3
	s_delay_alu instid0(VALU_DEP_1) | instskip(NEXT) | instid1(VALU_DEP_1)
	v_dual_fma_f32 v8, -v6, v3, v2 :: v_dual_fma_f32 v9, -v7, v3, v2
	v_cmp_ge_f32_e64 s0, 0, v8
	s_delay_alu instid0(VALU_DEP_1) | instskip(NEXT) | instid1(VALU_DEP_3)
	v_cndmask_b32_e64 v3, v3, v6, s0
	v_cmp_lt_f32_e64 s0, 0, v9
	s_delay_alu instid0(VALU_DEP_1) | instskip(SKIP_1) | instid1(VALU_DEP_1)
	v_cndmask_b32_e64 v3, v3, v7, s0
	s_mov_b32 s0, s1
	v_mul_f32_e32 v6, 0x37800000, v3
	s_delay_alu instid0(VALU_DEP_1) | instskip(SKIP_1) | instid1(VALU_DEP_2)
	v_cndmask_b32_e32 v3, v3, v6, vcc_lo
	v_cmp_class_f32_e64 vcc_lo, v2, 0x260
	v_cndmask_b32_e32 v2, v3, v2, vcc_lo
	v_cmp_le_f32_e32 vcc_lo, 0, v5
	s_delay_alu instid0(VALU_DEP_2) | instskip(NEXT) | instid1(VALU_DEP_1)
	v_cndmask_b32_e64 v2, v2, -v2, vcc_lo
	v_sub_f32_e32 v3, v5, v2
	s_delay_alu instid0(VALU_DEP_1) | instskip(SKIP_1) | instid1(VALU_DEP_2)
	v_div_scale_f32 v5, null, v3, v3, 1.0
	v_div_scale_f32 v8, vcc_lo, 1.0, v3, 1.0
	v_rcp_f32_e32 v6, v5
	v_nop
	s_delay_alu instid0(TRANS32_DEP_1) | instskip(NEXT) | instid1(VALU_DEP_1)
	v_fma_f32 v7, -v5, v6, 1.0
	v_fmac_f32_e32 v6, v7, v6
	s_delay_alu instid0(VALU_DEP_1) | instskip(NEXT) | instid1(VALU_DEP_1)
	v_mul_f32_e32 v7, v8, v6
	v_fma_f32 v9, -v5, v7, v8
	s_delay_alu instid0(VALU_DEP_1) | instskip(NEXT) | instid1(VALU_DEP_1)
	v_fmac_f32_e32 v7, v9, v6
	v_fma_f32 v5, -v5, v7, v8
	s_delay_alu instid0(VALU_DEP_1) | instskip(NEXT) | instid1(VALU_DEP_1)
	v_div_fmas_f32 v5, v5, v6, v7
	v_div_fixup_f32 v3, v5, v3, 1.0
	ds_store_b32 v4, v3
	flat_load_b32 v3, v4, s[6:7]
	s_wait_loadcnt_dscnt 0x0
	v_sub_f32_e32 v3, v2, v3
	s_delay_alu instid0(VALU_DEP_1) | instskip(NEXT) | instid1(VALU_DEP_1)
	v_div_scale_f32 v5, null, v2, v2, v3
	v_rcp_f32_e32 v6, v5
	v_nop
	s_delay_alu instid0(TRANS32_DEP_1) | instskip(NEXT) | instid1(VALU_DEP_1)
	v_fma_f32 v7, -v5, v6, 1.0
	v_fmac_f32_e32 v6, v7, v6
	v_div_scale_f32 v7, vcc_lo, v3, v2, v3
	s_delay_alu instid0(VALU_DEP_1) | instskip(NEXT) | instid1(VALU_DEP_1)
	v_mul_f32_e32 v8, v7, v6
	v_fma_f32 v9, -v5, v8, v7
	s_delay_alu instid0(VALU_DEP_1) | instskip(NEXT) | instid1(VALU_DEP_1)
	v_fmac_f32_e32 v8, v9, v6
	v_fma_f32 v5, -v5, v8, v7
	s_delay_alu instid0(VALU_DEP_1) | instskip(NEXT) | instid1(VALU_DEP_1)
	v_div_fmas_f32 v5, v5, v6, v8
	v_div_fixup_f32 v3, v5, v2, v3
	global_store_b32 v4, v3, s[8:9]
	s_and_not1_b32 vcc_lo, exec_lo, s14
	s_cbranch_vccnz .LBB8_15
.LBB8_24:
	s_wait_xcnt 0x0
	v_mov_b32_e32 v3, 0
	s_wait_loadcnt_dscnt 0x0
	global_store_b32 v3, v2, s[10:11]
	s_wait_xcnt 0x0
	v_mov_b32_e32 v2, 1.0
	s_branch .LBB8_16
	.section	.rodata,"a",@progbits
	.p2align	6, 0x0
	.amdhsa_kernel _ZN9rocsolver6v33100L18larfg_kernel_smallILi512EfifPKPfEEvT1_T3_llPT2_llS6_lS5_lPT0_l
		.amdhsa_group_segment_fixed_size 64
		.amdhsa_private_segment_fixed_size 0
		.amdhsa_kernarg_size 104
		.amdhsa_user_sgpr_count 2
		.amdhsa_user_sgpr_dispatch_ptr 0
		.amdhsa_user_sgpr_queue_ptr 0
		.amdhsa_user_sgpr_kernarg_segment_ptr 1
		.amdhsa_user_sgpr_dispatch_id 0
		.amdhsa_user_sgpr_kernarg_preload_length 0
		.amdhsa_user_sgpr_kernarg_preload_offset 0
		.amdhsa_user_sgpr_private_segment_size 0
		.amdhsa_wavefront_size32 1
		.amdhsa_uses_dynamic_stack 0
		.amdhsa_enable_private_segment 0
		.amdhsa_system_sgpr_workgroup_id_x 1
		.amdhsa_system_sgpr_workgroup_id_y 0
		.amdhsa_system_sgpr_workgroup_id_z 1
		.amdhsa_system_sgpr_workgroup_info 0
		.amdhsa_system_vgpr_workitem_id 0
		.amdhsa_next_free_vgpr 13
		.amdhsa_next_free_sgpr 28
		.amdhsa_named_barrier_count 0
		.amdhsa_reserve_vcc 1
		.amdhsa_float_round_mode_32 0
		.amdhsa_float_round_mode_16_64 0
		.amdhsa_float_denorm_mode_32 3
		.amdhsa_float_denorm_mode_16_64 3
		.amdhsa_fp16_overflow 0
		.amdhsa_memory_ordered 1
		.amdhsa_forward_progress 1
		.amdhsa_inst_pref_size 13
		.amdhsa_round_robin_scheduling 0
		.amdhsa_exception_fp_ieee_invalid_op 0
		.amdhsa_exception_fp_denorm_src 0
		.amdhsa_exception_fp_ieee_div_zero 0
		.amdhsa_exception_fp_ieee_overflow 0
		.amdhsa_exception_fp_ieee_underflow 0
		.amdhsa_exception_fp_ieee_inexact 0
		.amdhsa_exception_int_div_zero 0
	.end_amdhsa_kernel
	.section	.text._ZN9rocsolver6v33100L18larfg_kernel_smallILi512EfifPKPfEEvT1_T3_llPT2_llS6_lS5_lPT0_l,"axG",@progbits,_ZN9rocsolver6v33100L18larfg_kernel_smallILi512EfifPKPfEEvT1_T3_llPT2_llS6_lS5_lPT0_l,comdat
.Lfunc_end8:
	.size	_ZN9rocsolver6v33100L18larfg_kernel_smallILi512EfifPKPfEEvT1_T3_llPT2_llS6_lS5_lPT0_l, .Lfunc_end8-_ZN9rocsolver6v33100L18larfg_kernel_smallILi512EfifPKPfEEvT1_T3_llPT2_llS6_lS5_lPT0_l
                                        ; -- End function
	.set _ZN9rocsolver6v33100L18larfg_kernel_smallILi512EfifPKPfEEvT1_T3_llPT2_llS6_lS5_lPT0_l.num_vgpr, 13
	.set _ZN9rocsolver6v33100L18larfg_kernel_smallILi512EfifPKPfEEvT1_T3_llPT2_llS6_lS5_lPT0_l.num_agpr, 0
	.set _ZN9rocsolver6v33100L18larfg_kernel_smallILi512EfifPKPfEEvT1_T3_llPT2_llS6_lS5_lPT0_l.numbered_sgpr, 28
	.set _ZN9rocsolver6v33100L18larfg_kernel_smallILi512EfifPKPfEEvT1_T3_llPT2_llS6_lS5_lPT0_l.num_named_barrier, 0
	.set _ZN9rocsolver6v33100L18larfg_kernel_smallILi512EfifPKPfEEvT1_T3_llPT2_llS6_lS5_lPT0_l.private_seg_size, 0
	.set _ZN9rocsolver6v33100L18larfg_kernel_smallILi512EfifPKPfEEvT1_T3_llPT2_llS6_lS5_lPT0_l.uses_vcc, 1
	.set _ZN9rocsolver6v33100L18larfg_kernel_smallILi512EfifPKPfEEvT1_T3_llPT2_llS6_lS5_lPT0_l.uses_flat_scratch, 0
	.set _ZN9rocsolver6v33100L18larfg_kernel_smallILi512EfifPKPfEEvT1_T3_llPT2_llS6_lS5_lPT0_l.has_dyn_sized_stack, 0
	.set _ZN9rocsolver6v33100L18larfg_kernel_smallILi512EfifPKPfEEvT1_T3_llPT2_llS6_lS5_lPT0_l.has_recursion, 0
	.set _ZN9rocsolver6v33100L18larfg_kernel_smallILi512EfifPKPfEEvT1_T3_llPT2_llS6_lS5_lPT0_l.has_indirect_call, 0
	.section	.AMDGPU.csdata,"",@progbits
; Kernel info:
; codeLenInByte = 1552
; TotalNumSgprs: 30
; NumVgprs: 13
; ScratchSize: 0
; MemoryBound: 0
; FloatMode: 240
; IeeeMode: 1
; LDSByteSize: 64 bytes/workgroup (compile time only)
; SGPRBlocks: 0
; VGPRBlocks: 0
; NumSGPRsForWavesPerEU: 30
; NumVGPRsForWavesPerEU: 13
; NamedBarCnt: 0
; Occupancy: 16
; WaveLimiterHint : 1
; COMPUTE_PGM_RSRC2:SCRATCH_EN: 0
; COMPUTE_PGM_RSRC2:USER_SGPR: 2
; COMPUTE_PGM_RSRC2:TRAP_HANDLER: 0
; COMPUTE_PGM_RSRC2:TGID_X_EN: 1
; COMPUTE_PGM_RSRC2:TGID_Y_EN: 0
; COMPUTE_PGM_RSRC2:TGID_Z_EN: 1
; COMPUTE_PGM_RSRC2:TIDIG_COMP_CNT: 0
	.section	.text._ZN9rocsolver6v33100L18larfg_kernel_smallILi1024EfifPKPfEEvT1_T3_llPT2_llS6_lS5_lPT0_l,"axG",@progbits,_ZN9rocsolver6v33100L18larfg_kernel_smallILi1024EfifPKPfEEvT1_T3_llPT2_llS6_lS5_lPT0_l,comdat
	.globl	_ZN9rocsolver6v33100L18larfg_kernel_smallILi1024EfifPKPfEEvT1_T3_llPT2_llS6_lS5_lPT0_l ; -- Begin function _ZN9rocsolver6v33100L18larfg_kernel_smallILi1024EfifPKPfEEvT1_T3_llPT2_llS6_lS5_lPT0_l
	.p2align	8
	.type	_ZN9rocsolver6v33100L18larfg_kernel_smallILi1024EfifPKPfEEvT1_T3_llPT2_llS6_lS5_lPT0_l,@function
_ZN9rocsolver6v33100L18larfg_kernel_smallILi1024EfifPKPfEEvT1_T3_llPT2_llS6_lS5_lPT0_l: ; @_ZN9rocsolver6v33100L18larfg_kernel_smallILi1024EfifPKPfEEvT1_T3_llPT2_llS6_lS5_lPT0_l
; %bb.0:
	s_load_b256 s[4:11], s[0:1], 0x20
	s_bfe_u32 s2, ttmp6, 0x40014
	s_lshr_b32 s3, ttmp7, 16
	s_add_co_i32 s2, s2, 1
	s_bfe_u32 s12, ttmp6, 0x40008
	s_mul_i32 s2, s3, s2
	s_getreg_b32 s13, hwreg(HW_REG_IB_STS2, 6, 4)
	s_add_co_i32 s2, s12, s2
	s_cmp_eq_u32 s13, 0
	s_load_b128 s[12:15], s[0:1], 0x8
	s_cselect_b32 s16, s3, s2
	s_mov_b32 s17, 0
	s_load_b64 s[18:19], s[0:1], 0x40
	s_wait_kmcnt 0x0
	s_load_b64 s[20:21], s[10:11], s16 offset:0x0 scale_offset
	s_cmp_eq_u64 s[4:5], 0
	s_wait_xcnt 0x0
	s_mov_b64 s[10:11], 0
	s_cbranch_scc1 .LBB9_2
; %bb.1:
	s_mul_u64 s[2:3], s[8:9], s[16:17]
	s_delay_alu instid0(SALU_CYCLE_1) | instskip(NEXT) | instid1(SALU_CYCLE_1)
	s_lshl_b64 s[2:3], s[2:3], 2
	s_add_nc_u64 s[2:3], s[4:5], s[2:3]
	s_lshl_b64 s[4:5], s[6:7], 2
	s_delay_alu instid0(SALU_CYCLE_1)
	s_add_nc_u64 s[10:11], s[2:3], s[4:5]
.LBB9_2:
	s_clause 0x1
	s_load_b32 s22, s[0:1], 0x48
	s_load_b32 s3, s[0:1], 0x0
	s_load_b64 s[6:7], s[12:13], s16 offset:0x0 scale_offset
	v_mov_b32_e32 v2, 0
	s_lshl_b64 s[4:5], s[18:19], 2
	s_wait_kmcnt 0x0
	s_add_nc_u64 s[4:5], s[20:21], s[4:5]
	v_mul_lo_u32 v1, v0, s22
	s_add_co_i32 s3, s3, -1
	s_delay_alu instid0(SALU_CYCLE_1)
	v_cmp_gt_i32_e64 s2, s3, v0
	s_and_saveexec_b32 s8, s2
	s_cbranch_execz .LBB9_6
; %bb.3:
	v_mul_lo_u32 v3, v0, s22
	v_dual_mov_b32 v2, 0 :: v_dual_mov_b32 v4, v0
	s_lshl_b32 s12, s22, 10
	s_mov_b32 s9, 0
.LBB9_4:                                ; =>This Inner Loop Header: Depth=1
	flat_load_b32 v5, v3, s[4:5] scale_offset
	v_add_nc_u32_e32 v4, 0x400, v4
	s_wait_xcnt 0x0
	v_add_nc_u32_e32 v3, s12, v3
	s_delay_alu instid0(VALU_DEP_2)
	v_cmp_le_i32_e32 vcc_lo, s3, v4
	s_or_b32 s9, vcc_lo, s9
	s_wait_loadcnt_dscnt 0x0
	v_fmac_f32_e32 v2, v5, v5
	s_and_not1_b32 exec_lo, exec_lo, s9
	s_cbranch_execnz .LBB9_4
; %bb.5:
	s_or_b32 exec_lo, exec_lo, s9
.LBB9_6:
	s_delay_alu instid0(SALU_CYCLE_1) | instskip(SKIP_2) | instid1(VALU_DEP_1)
	s_or_b32 exec_lo, exec_lo, s8
	v_mbcnt_lo_u32_b32 v3, -1, 0
	s_mov_b32 s8, exec_lo
	v_cmp_ne_u32_e32 vcc_lo, 31, v3
	v_add_co_ci_u32_e64 v4, null, 0, v3, vcc_lo
	v_cmp_gt_u32_e32 vcc_lo, 30, v3
	s_delay_alu instid0(VALU_DEP_2)
	v_lshlrev_b32_e32 v4, 2, v4
	v_cndmask_b32_e64 v5, 0, 2, vcc_lo
	v_cmp_gt_u32_e32 vcc_lo, 28, v3
	ds_bpermute_b32 v4, v4, v2
	v_add_lshl_u32 v5, v5, v3, 2
	s_wait_dscnt 0x0
	v_add_f32_e32 v2, v2, v4
	ds_bpermute_b32 v4, v5, v2
	v_cndmask_b32_e64 v5, 0, 4, vcc_lo
	v_cmp_gt_u32_e32 vcc_lo, 24, v3
	s_delay_alu instid0(VALU_DEP_2) | instskip(SKIP_4) | instid1(VALU_DEP_1)
	v_add_lshl_u32 v5, v5, v3, 2
	s_wait_dscnt 0x0
	v_add_f32_e32 v2, v2, v4
	ds_bpermute_b32 v4, v5, v2
	v_cndmask_b32_e64 v5, 0, 8, vcc_lo
	v_add_lshl_u32 v5, v5, v3, 2
	v_lshl_or_b32 v3, v3, 2, 64
	s_wait_dscnt 0x0
	v_add_f32_e32 v2, v2, v4
	ds_bpermute_b32 v4, v5, v2
	s_wait_dscnt 0x0
	v_add_f32_e32 v2, v2, v4
	v_and_b32_e32 v4, 31, v0
	ds_bpermute_b32 v3, v3, v2
	s_wait_dscnt 0x0
	v_add_f32_e32 v2, v2, v3
	v_cmpx_eq_u32_e32 0, v4
; %bb.7:
	v_lshrrev_b32_e32 v3, 3, v0
	ds_store_b32 v3, v2
; %bb.8:
	s_or_b32 exec_lo, exec_lo, s8
	v_cmp_eq_u32_e32 vcc_lo, 0, v0
	s_wait_dscnt 0x0
	s_barrier_signal -1
	s_barrier_wait -1
	s_and_saveexec_b32 s8, vcc_lo
	s_cbranch_execz .LBB9_10
; %bb.9:
	v_mov_b32_e32 v12, 0
	ds_load_2addr_b32 v[4:5], v12 offset0:1 offset1:2
	ds_load_2addr_b32 v[6:7], v12 offset0:3 offset1:4
	;; [unrolled: 1-line block ×4, first 2 shown]
	s_wait_dscnt 0x3
	v_add_f32_e32 v2, v2, v4
	s_delay_alu instid0(VALU_DEP_1) | instskip(SKIP_1) | instid1(VALU_DEP_1)
	v_add_f32_e32 v2, v2, v5
	s_wait_dscnt 0x2
	v_add_f32_e32 v2, v2, v6
	s_delay_alu instid0(VALU_DEP_1) | instskip(SKIP_3) | instid1(VALU_DEP_1)
	v_add_f32_e32 v4, v2, v7
	ds_load_2addr_b32 v[2:3], v12 offset0:9 offset1:10
	s_wait_dscnt 0x2
	v_add_f32_e32 v4, v4, v8
	v_add_f32_e32 v6, v4, v9
	ds_load_2addr_b32 v[4:5], v12 offset0:11 offset1:12
	s_wait_dscnt 0x2
	v_add_f32_e32 v6, v6, v10
	s_delay_alu instid0(VALU_DEP_1) | instskip(SKIP_4) | instid1(VALU_DEP_1)
	v_add_f32_e32 v10, v6, v11
	ds_load_2addr_b32 v[6:7], v12 offset0:13 offset1:14
	ds_load_2addr_b32 v[8:9], v12 offset0:15 offset1:16
	s_wait_dscnt 0x3
	v_add_f32_e32 v2, v10, v2
	v_add_f32_e32 v2, v2, v3
	s_wait_dscnt 0x2
	s_delay_alu instid0(VALU_DEP_1) | instskip(NEXT) | instid1(VALU_DEP_1)
	v_add_f32_e32 v2, v2, v4
	v_add_f32_e32 v4, v2, v5
	ds_load_2addr_b32 v[2:3], v12 offset0:17 offset1:18
	s_wait_dscnt 0x2
	v_add_f32_e32 v4, v4, v6
	s_delay_alu instid0(VALU_DEP_1) | instskip(SKIP_3) | instid1(VALU_DEP_1)
	v_add_f32_e32 v6, v4, v7
	ds_load_2addr_b32 v[4:5], v12 offset0:19 offset1:20
	s_wait_dscnt 0x2
	v_add_f32_e32 v6, v6, v8
	v_add_f32_e32 v10, v6, v9
	ds_load_2addr_b32 v[6:7], v12 offset0:21 offset1:22
	ds_load_2addr_b32 v[8:9], v12 offset0:23 offset1:24
	s_wait_dscnt 0x3
	v_add_f32_e32 v2, v10, v2
	s_delay_alu instid0(VALU_DEP_1) | instskip(SKIP_1) | instid1(VALU_DEP_1)
	v_add_f32_e32 v2, v2, v3
	s_wait_dscnt 0x2
	v_add_f32_e32 v2, v2, v4
	s_delay_alu instid0(VALU_DEP_1) | instskip(SKIP_1) | instid1(VALU_DEP_1)
	v_add_f32_e32 v2, v2, v5
	s_wait_dscnt 0x1
	v_add_f32_e32 v4, v2, v6
	ds_load_2addr_b32 v[2:3], v12 offset0:25 offset1:26
	v_add_f32_e32 v4, v4, v7
	s_wait_dscnt 0x1
	s_delay_alu instid0(VALU_DEP_1)
	v_add_f32_e32 v6, v4, v8
	ds_load_2addr_b32 v[4:5], v12 offset0:27 offset1:28
	v_add_f32_e32 v8, v6, v9
	ds_load_2addr_b32 v[6:7], v12 offset0:29 offset1:30
	ds_load_b32 v9, v12 offset:124
	s_wait_dscnt 0x3
	v_add_f32_e32 v2, v8, v2
	s_delay_alu instid0(VALU_DEP_1) | instskip(SKIP_1) | instid1(VALU_DEP_1)
	v_add_f32_e32 v2, v2, v3
	s_wait_dscnt 0x2
	v_add_f32_e32 v2, v2, v4
	s_delay_alu instid0(VALU_DEP_1) | instskip(SKIP_1) | instid1(VALU_DEP_1)
	v_add_f32_e32 v2, v2, v5
	;; [unrolled: 4-line block ×3, first 2 shown]
	s_wait_dscnt 0x0
	v_add_f32_e32 v2, v2, v9
	ds_store_b32 v12, v2
.LBB9_10:
	s_or_b32 exec_lo, exec_lo, s8
	s_wait_dscnt 0x0
	s_barrier_signal -1
	s_barrier_wait -1
	s_and_saveexec_b32 s12, vcc_lo
	s_cbranch_execz .LBB9_17
; %bb.11:
	v_mov_b32_e32 v4, 0
	s_load_b128 s[24:27], s[0:1], 0x58
	s_wait_xcnt 0x0
	s_lshl_b64 s[0:1], s[14:15], 2
	s_delay_alu instid0(SALU_CYCLE_1) | instskip(SKIP_4) | instid1(SALU_CYCLE_1)
	s_add_nc_u64 s[6:7], s[6:7], s[0:1]
	ds_load_b32 v3, v4
	s_mov_b32 s0, 0
	s_wait_kmcnt 0x0
	s_mul_u64 s[8:9], s[26:27], s[16:17]
	s_lshl_b64 s[8:9], s[8:9], 2
	s_cmp_eq_u64 s[10:11], 0
	s_wait_dscnt 0x0
	v_cmp_nlt_f32_e32 vcc_lo, 0, v3
	s_cselect_b32 s1, -1, 0
	s_cmp_lg_u64 s[10:11], 0
	s_add_nc_u64 s[8:9], s[24:25], s[8:9]
	s_cselect_b32 s13, -1, 0
	s_cbranch_vccz .LBB9_21
; %bb.12:
	v_mov_b32_e32 v5, 1.0
	s_mov_b32 s15, 0
	s_and_b32 vcc_lo, exec_lo, s13
	s_mov_b32 s14, 0
                                        ; implicit-def: $vgpr2
	global_store_b32 v4, v4, s[8:9]
	ds_store_b32 v4, v5
	s_cbranch_vccnz .LBB9_22
; %bb.13:
	s_and_b32 vcc_lo, exec_lo, s15
	s_cbranch_vccnz .LBB9_23
.LBB9_14:
	s_and_not1_b32 vcc_lo, exec_lo, s14
	s_cbranch_vccz .LBB9_24
.LBB9_15:
	s_and_not1_b32 vcc_lo, exec_lo, s0
	s_cbranch_vccnz .LBB9_17
.LBB9_16:
	s_wait_xcnt 0x0
	v_mov_b32_e32 v3, 0
	s_wait_loadcnt_dscnt 0x0
	flat_store_b32 v3, v2, s[6:7]
.LBB9_17:
	s_wait_xcnt 0x0
	s_or_b32 exec_lo, exec_lo, s12
	s_wait_storecnt 0x0
	s_wait_loadcnt_dscnt 0x0
	s_barrier_signal -1
	s_barrier_wait -1
	s_and_saveexec_b32 s0, s2
	s_cbranch_execz .LBB9_20
; %bb.18:
	v_mov_b32_e32 v2, 0
	s_lshl_b32 s0, s22, 10
	s_mov_b32 s1, 0
	ds_load_b32 v2, v2
.LBB9_19:                               ; =>This Inner Loop Header: Depth=1
	flat_load_b32 v3, v1, s[4:5] scale_offset
	s_wait_loadcnt_dscnt 0x0
	v_dual_mul_f32 v3, v2, v3 :: v_dual_add_nc_u32 v0, 0x400, v0
	s_delay_alu instid0(VALU_DEP_1) | instskip(SKIP_4) | instid1(SALU_CYCLE_1)
	v_cmp_le_i32_e32 vcc_lo, s3, v0
	flat_store_b32 v1, v3, s[4:5] scale_offset
	s_wait_xcnt 0x0
	v_add_nc_u32_e32 v1, s0, v1
	s_or_b32 s1, vcc_lo, s1
	s_and_not1_b32 exec_lo, exec_lo, s1
	s_cbranch_execnz .LBB9_19
.LBB9_20:
	s_endpgm
.LBB9_21:
	s_mov_b32 s14, 0
                                        ; implicit-def: $vgpr2
	s_cbranch_execz .LBB9_14
	s_branch .LBB9_23
.LBB9_22:
	v_mov_b32_e32 v2, 0
	s_mov_b32 s14, -1
	flat_load_b32 v2, v2, s[6:7]
	s_and_b32 vcc_lo, exec_lo, s15
	s_cbranch_vccz .LBB9_14
.LBB9_23:
	s_wait_xcnt 0x0
	v_mov_b32_e32 v4, 0
	s_mov_b32 s14, s13
	flat_load_b32 v5, v4, s[6:7]
	s_wait_loadcnt_dscnt 0x0
	v_fmac_f32_e32 v3, v5, v5
	s_delay_alu instid0(VALU_DEP_1) | instskip(SKIP_1) | instid1(VALU_DEP_2)
	v_mul_f32_e32 v2, 0x4f800000, v3
	v_cmp_gt_f32_e32 vcc_lo, 0xf800000, v3
	v_cndmask_b32_e32 v2, v3, v2, vcc_lo
	s_delay_alu instid0(VALU_DEP_1) | instskip(SKIP_1) | instid1(TRANS32_DEP_1)
	v_sqrt_f32_e32 v3, v2
	v_nop
	v_dual_add_nc_u32 v6, -1, v3 :: v_dual_add_nc_u32 v7, 1, v3
	s_delay_alu instid0(VALU_DEP_1) | instskip(NEXT) | instid1(VALU_DEP_1)
	v_dual_fma_f32 v8, -v6, v3, v2 :: v_dual_fma_f32 v9, -v7, v3, v2
	v_cmp_ge_f32_e64 s0, 0, v8
	s_delay_alu instid0(VALU_DEP_1) | instskip(NEXT) | instid1(VALU_DEP_3)
	v_cndmask_b32_e64 v3, v3, v6, s0
	v_cmp_lt_f32_e64 s0, 0, v9
	s_delay_alu instid0(VALU_DEP_1) | instskip(SKIP_1) | instid1(VALU_DEP_1)
	v_cndmask_b32_e64 v3, v3, v7, s0
	s_mov_b32 s0, s1
	v_mul_f32_e32 v6, 0x37800000, v3
	s_delay_alu instid0(VALU_DEP_1) | instskip(SKIP_1) | instid1(VALU_DEP_2)
	v_cndmask_b32_e32 v3, v3, v6, vcc_lo
	v_cmp_class_f32_e64 vcc_lo, v2, 0x260
	v_cndmask_b32_e32 v2, v3, v2, vcc_lo
	v_cmp_le_f32_e32 vcc_lo, 0, v5
	s_delay_alu instid0(VALU_DEP_2) | instskip(NEXT) | instid1(VALU_DEP_1)
	v_cndmask_b32_e64 v2, v2, -v2, vcc_lo
	v_sub_f32_e32 v3, v5, v2
	s_delay_alu instid0(VALU_DEP_1) | instskip(SKIP_1) | instid1(VALU_DEP_2)
	v_div_scale_f32 v5, null, v3, v3, 1.0
	v_div_scale_f32 v8, vcc_lo, 1.0, v3, 1.0
	v_rcp_f32_e32 v6, v5
	v_nop
	s_delay_alu instid0(TRANS32_DEP_1) | instskip(NEXT) | instid1(VALU_DEP_1)
	v_fma_f32 v7, -v5, v6, 1.0
	v_fmac_f32_e32 v6, v7, v6
	s_delay_alu instid0(VALU_DEP_1) | instskip(NEXT) | instid1(VALU_DEP_1)
	v_mul_f32_e32 v7, v8, v6
	v_fma_f32 v9, -v5, v7, v8
	s_delay_alu instid0(VALU_DEP_1) | instskip(NEXT) | instid1(VALU_DEP_1)
	v_fmac_f32_e32 v7, v9, v6
	v_fma_f32 v5, -v5, v7, v8
	s_delay_alu instid0(VALU_DEP_1) | instskip(NEXT) | instid1(VALU_DEP_1)
	v_div_fmas_f32 v5, v5, v6, v7
	v_div_fixup_f32 v3, v5, v3, 1.0
	ds_store_b32 v4, v3
	flat_load_b32 v3, v4, s[6:7]
	s_wait_loadcnt_dscnt 0x0
	v_sub_f32_e32 v3, v2, v3
	s_delay_alu instid0(VALU_DEP_1) | instskip(NEXT) | instid1(VALU_DEP_1)
	v_div_scale_f32 v5, null, v2, v2, v3
	v_rcp_f32_e32 v6, v5
	v_nop
	s_delay_alu instid0(TRANS32_DEP_1) | instskip(NEXT) | instid1(VALU_DEP_1)
	v_fma_f32 v7, -v5, v6, 1.0
	v_fmac_f32_e32 v6, v7, v6
	v_div_scale_f32 v7, vcc_lo, v3, v2, v3
	s_delay_alu instid0(VALU_DEP_1) | instskip(NEXT) | instid1(VALU_DEP_1)
	v_mul_f32_e32 v8, v7, v6
	v_fma_f32 v9, -v5, v8, v7
	s_delay_alu instid0(VALU_DEP_1) | instskip(NEXT) | instid1(VALU_DEP_1)
	v_fmac_f32_e32 v8, v9, v6
	v_fma_f32 v5, -v5, v8, v7
	s_delay_alu instid0(VALU_DEP_1) | instskip(NEXT) | instid1(VALU_DEP_1)
	v_div_fmas_f32 v5, v5, v6, v8
	v_div_fixup_f32 v3, v5, v2, v3
	global_store_b32 v4, v3, s[8:9]
	s_and_not1_b32 vcc_lo, exec_lo, s14
	s_cbranch_vccnz .LBB9_15
.LBB9_24:
	s_wait_xcnt 0x0
	v_mov_b32_e32 v3, 0
	s_wait_loadcnt_dscnt 0x0
	global_store_b32 v3, v2, s[10:11]
	s_wait_xcnt 0x0
	v_mov_b32_e32 v2, 1.0
	s_branch .LBB9_16
	.section	.rodata,"a",@progbits
	.p2align	6, 0x0
	.amdhsa_kernel _ZN9rocsolver6v33100L18larfg_kernel_smallILi1024EfifPKPfEEvT1_T3_llPT2_llS6_lS5_lPT0_l
		.amdhsa_group_segment_fixed_size 128
		.amdhsa_private_segment_fixed_size 0
		.amdhsa_kernarg_size 104
		.amdhsa_user_sgpr_count 2
		.amdhsa_user_sgpr_dispatch_ptr 0
		.amdhsa_user_sgpr_queue_ptr 0
		.amdhsa_user_sgpr_kernarg_segment_ptr 1
		.amdhsa_user_sgpr_dispatch_id 0
		.amdhsa_user_sgpr_kernarg_preload_length 0
		.amdhsa_user_sgpr_kernarg_preload_offset 0
		.amdhsa_user_sgpr_private_segment_size 0
		.amdhsa_wavefront_size32 1
		.amdhsa_uses_dynamic_stack 0
		.amdhsa_enable_private_segment 0
		.amdhsa_system_sgpr_workgroup_id_x 1
		.amdhsa_system_sgpr_workgroup_id_y 0
		.amdhsa_system_sgpr_workgroup_id_z 1
		.amdhsa_system_sgpr_workgroup_info 0
		.amdhsa_system_vgpr_workitem_id 0
		.amdhsa_next_free_vgpr 13
		.amdhsa_next_free_sgpr 28
		.amdhsa_named_barrier_count 0
		.amdhsa_reserve_vcc 1
		.amdhsa_float_round_mode_32 0
		.amdhsa_float_round_mode_16_64 0
		.amdhsa_float_denorm_mode_32 3
		.amdhsa_float_denorm_mode_16_64 3
		.amdhsa_fp16_overflow 0
		.amdhsa_memory_ordered 1
		.amdhsa_forward_progress 1
		.amdhsa_inst_pref_size 14
		.amdhsa_round_robin_scheduling 0
		.amdhsa_exception_fp_ieee_invalid_op 0
		.amdhsa_exception_fp_denorm_src 0
		.amdhsa_exception_fp_ieee_div_zero 0
		.amdhsa_exception_fp_ieee_overflow 0
		.amdhsa_exception_fp_ieee_underflow 0
		.amdhsa_exception_fp_ieee_inexact 0
		.amdhsa_exception_int_div_zero 0
	.end_amdhsa_kernel
	.section	.text._ZN9rocsolver6v33100L18larfg_kernel_smallILi1024EfifPKPfEEvT1_T3_llPT2_llS6_lS5_lPT0_l,"axG",@progbits,_ZN9rocsolver6v33100L18larfg_kernel_smallILi1024EfifPKPfEEvT1_T3_llPT2_llS6_lS5_lPT0_l,comdat
.Lfunc_end9:
	.size	_ZN9rocsolver6v33100L18larfg_kernel_smallILi1024EfifPKPfEEvT1_T3_llPT2_llS6_lS5_lPT0_l, .Lfunc_end9-_ZN9rocsolver6v33100L18larfg_kernel_smallILi1024EfifPKPfEEvT1_T3_llPT2_llS6_lS5_lPT0_l
                                        ; -- End function
	.set _ZN9rocsolver6v33100L18larfg_kernel_smallILi1024EfifPKPfEEvT1_T3_llPT2_llS6_lS5_lPT0_l.num_vgpr, 13
	.set _ZN9rocsolver6v33100L18larfg_kernel_smallILi1024EfifPKPfEEvT1_T3_llPT2_llS6_lS5_lPT0_l.num_agpr, 0
	.set _ZN9rocsolver6v33100L18larfg_kernel_smallILi1024EfifPKPfEEvT1_T3_llPT2_llS6_lS5_lPT0_l.numbered_sgpr, 28
	.set _ZN9rocsolver6v33100L18larfg_kernel_smallILi1024EfifPKPfEEvT1_T3_llPT2_llS6_lS5_lPT0_l.num_named_barrier, 0
	.set _ZN9rocsolver6v33100L18larfg_kernel_smallILi1024EfifPKPfEEvT1_T3_llPT2_llS6_lS5_lPT0_l.private_seg_size, 0
	.set _ZN9rocsolver6v33100L18larfg_kernel_smallILi1024EfifPKPfEEvT1_T3_llPT2_llS6_lS5_lPT0_l.uses_vcc, 1
	.set _ZN9rocsolver6v33100L18larfg_kernel_smallILi1024EfifPKPfEEvT1_T3_llPT2_llS6_lS5_lPT0_l.uses_flat_scratch, 0
	.set _ZN9rocsolver6v33100L18larfg_kernel_smallILi1024EfifPKPfEEvT1_T3_llPT2_llS6_lS5_lPT0_l.has_dyn_sized_stack, 0
	.set _ZN9rocsolver6v33100L18larfg_kernel_smallILi1024EfifPKPfEEvT1_T3_llPT2_llS6_lS5_lPT0_l.has_recursion, 0
	.set _ZN9rocsolver6v33100L18larfg_kernel_smallILi1024EfifPKPfEEvT1_T3_llPT2_llS6_lS5_lPT0_l.has_indirect_call, 0
	.section	.AMDGPU.csdata,"",@progbits
; Kernel info:
; codeLenInByte = 1732
; TotalNumSgprs: 30
; NumVgprs: 13
; ScratchSize: 0
; MemoryBound: 0
; FloatMode: 240
; IeeeMode: 1
; LDSByteSize: 128 bytes/workgroup (compile time only)
; SGPRBlocks: 0
; VGPRBlocks: 0
; NumSGPRsForWavesPerEU: 30
; NumVGPRsForWavesPerEU: 13
; NamedBarCnt: 0
; Occupancy: 16
; WaveLimiterHint : 1
; COMPUTE_PGM_RSRC2:SCRATCH_EN: 0
; COMPUTE_PGM_RSRC2:USER_SGPR: 2
; COMPUTE_PGM_RSRC2:TRAP_HANDLER: 0
; COMPUTE_PGM_RSRC2:TGID_X_EN: 1
; COMPUTE_PGM_RSRC2:TGID_Y_EN: 0
; COMPUTE_PGM_RSRC2:TGID_Z_EN: 1
; COMPUTE_PGM_RSRC2:TIDIG_COMP_CNT: 0
	.section	.text._ZN9rocsolver6v33100L18larfg_kernel_smallILi64EflfPfEEvT1_T3_llPT2_llS4_lS3_lPT0_l,"axG",@progbits,_ZN9rocsolver6v33100L18larfg_kernel_smallILi64EflfPfEEvT1_T3_llPT2_llS4_lS3_lPT0_l,comdat
	.globl	_ZN9rocsolver6v33100L18larfg_kernel_smallILi64EflfPfEEvT1_T3_llPT2_llS4_lS3_lPT0_l ; -- Begin function _ZN9rocsolver6v33100L18larfg_kernel_smallILi64EflfPfEEvT1_T3_llPT2_llS4_lS3_lPT0_l
	.p2align	8
	.type	_ZN9rocsolver6v33100L18larfg_kernel_smallILi64EflfPfEEvT1_T3_llPT2_llS4_lS3_lPT0_l,@function
_ZN9rocsolver6v33100L18larfg_kernel_smallILi64EflfPfEEvT1_T3_llPT2_llS4_lS3_lPT0_l: ; @_ZN9rocsolver6v33100L18larfg_kernel_smallILi64EflfPfEEvT1_T3_llPT2_llS4_lS3_lPT0_l
; %bb.0:
	s_load_b512 s[4:19], s[0:1], 0x0
	s_bfe_u32 s2, ttmp6, 0x40014
	s_lshr_b32 s3, ttmp7, 16
	s_add_co_i32 s2, s2, 1
	s_bfe_u32 s20, ttmp6, 0x40008
	s_mul_i32 s2, s3, s2
	s_getreg_b32 s21, hwreg(HW_REG_IB_STS2, 6, 4)
	s_add_co_i32 s20, s20, s2
	s_cmp_eq_u32 s21, 0
	s_mov_b32 s31, 0
	s_cselect_b32 s30, s3, s20
	s_mov_b64 s[28:29], 0
	s_wait_kmcnt 0x0
	s_cmp_eq_u64 s[12:13], 0
	s_cbranch_scc1 .LBB10_2
; %bb.1:
	s_mul_u64 s[2:3], s[16:17], s[30:31]
	s_delay_alu instid0(SALU_CYCLE_1) | instskip(NEXT) | instid1(SALU_CYCLE_1)
	s_lshl_b64 s[2:3], s[2:3], 2
	s_add_nc_u64 s[2:3], s[12:13], s[2:3]
	s_lshl_b64 s[12:13], s[14:15], 2
	s_delay_alu instid0(SALU_CYCLE_1)
	s_add_nc_u64 s[28:29], s[2:3], s[12:13]
.LBB10_2:
	s_load_b256 s[20:27], s[0:1], 0x40
	v_mov_b32_e32 v1, 0
	s_load_b64 s[12:13], s[0:1], 0x60
	s_add_nc_u64 s[2:3], s[4:5], -1
	s_wait_xcnt 0x0
	s_delay_alu instid0(VALU_DEP_1)
	v_cmp_gt_i64_e64 s0, s[2:3], v[0:1]
	v_mov_b32_e32 v8, v1
	s_wait_kmcnt 0x0
	v_mul_u64_e32 v[2:3], s[22:23], v[0:1]
	s_mul_u64 s[4:5], s[24:25], s[30:31]
	s_and_saveexec_b32 s1, s0
	s_cbranch_execz .LBB10_6
; %bb.3:
	s_lshl_b64 s[14:15], s[20:21], 2
	s_lshl_b64 s[16:17], s[4:5], 2
	s_add_nc_u64 s[14:15], s[18:19], s[14:15]
	v_mov_b64_e32 v[6:7], v[0:1]
	s_add_nc_u64 s[14:15], s[14:15], s[16:17]
	v_mov_b32_e32 v8, 0
	s_delay_alu instid0(VALU_DEP_3)
	v_lshl_add_u64 v[4:5], v[2:3], 2, s[14:15]
	s_lshl_b64 s[14:15], s[22:23], 8
	s_mov_b32 s16, 0
.LBB10_4:                               ; =>This Inner Loop Header: Depth=1
	global_load_b32 v9, v[4:5], off
	v_add_nc_u64_e32 v[6:7], 64, v[6:7]
	s_wait_xcnt 0x0
	v_add_nc_u64_e32 v[4:5], s[14:15], v[4:5]
	s_delay_alu instid0(VALU_DEP_2)
	v_cmp_le_i64_e32 vcc_lo, s[2:3], v[6:7]
	s_or_b32 s16, vcc_lo, s16
	s_wait_loadcnt 0x0
	v_fmac_f32_e32 v8, v9, v9
	s_and_not1_b32 exec_lo, exec_lo, s16
	s_cbranch_execnz .LBB10_4
; %bb.5:
	s_or_b32 exec_lo, exec_lo, s16
.LBB10_6:
	s_delay_alu instid0(SALU_CYCLE_1) | instskip(SKIP_2) | instid1(VALU_DEP_1)
	s_or_b32 exec_lo, exec_lo, s1
	v_mbcnt_lo_u32_b32 v4, -1, 0
	s_mov_b32 s1, exec_lo
	v_cmp_ne_u32_e32 vcc_lo, 31, v4
	v_add_co_ci_u32_e64 v5, null, 0, v4, vcc_lo
	v_cmp_gt_u32_e32 vcc_lo, 30, v4
	s_delay_alu instid0(VALU_DEP_2)
	v_lshlrev_b32_e32 v5, 2, v5
	v_cndmask_b32_e64 v6, 0, 2, vcc_lo
	v_cmp_gt_u32_e32 vcc_lo, 28, v4
	ds_bpermute_b32 v5, v5, v8
	v_add_lshl_u32 v6, v6, v4, 2
	v_cndmask_b32_e64 v7, 0, 4, vcc_lo
	v_cmp_gt_u32_e32 vcc_lo, 24, v4
	s_delay_alu instid0(VALU_DEP_2)
	v_add_lshl_u32 v7, v7, v4, 2
	s_wait_dscnt 0x0
	v_add_f32_e32 v5, v8, v5
	ds_bpermute_b32 v6, v6, v5
	s_wait_dscnt 0x0
	v_add_f32_e32 v5, v5, v6
	ds_bpermute_b32 v6, v7, v5
	v_cndmask_b32_e64 v7, 0, 8, vcc_lo
	s_delay_alu instid0(VALU_DEP_1)
	v_add_lshl_u32 v7, v7, v4, 2
	v_lshl_or_b32 v4, v4, 2, 64
	s_wait_dscnt 0x0
	v_add_f32_e32 v5, v5, v6
	ds_bpermute_b32 v6, v7, v5
	s_wait_dscnt 0x0
	v_dual_add_f32 v5, v5, v6 :: v_dual_bitop2_b32 v6, 31, v0 bitop3:0x40
	ds_bpermute_b32 v4, v4, v5
	s_wait_dscnt 0x0
	v_add_f32_e32 v4, v5, v4
	v_cmpx_eq_u32_e32 0, v6
; %bb.7:
	v_lshrrev_b32_e32 v5, 3, v0
	ds_store_b32 v5, v4
; %bb.8:
	s_or_b32 exec_lo, exec_lo, s1
	v_cmp_eq_u32_e32 vcc_lo, 0, v0
	s_wait_dscnt 0x0
	s_barrier_signal -1
	s_barrier_wait -1
	s_and_saveexec_b32 s1, vcc_lo
	s_cbranch_execz .LBB10_10
; %bb.9:
	v_mov_b32_e32 v5, 0
	ds_load_b32 v6, v5 offset:4
	s_wait_dscnt 0x0
	v_add_f32_e32 v4, v4, v6
	ds_store_b32 v5, v4
.LBB10_10:
	s_or_b32 exec_lo, exec_lo, s1
	s_wait_dscnt 0x0
	s_barrier_signal -1
	s_barrier_wait -1
	s_and_saveexec_b32 s14, vcc_lo
	s_cbranch_execz .LBB10_20
; %bb.11:
	v_mov_b32_e32 v4, 0
	s_mul_u64 s[10:11], s[10:11], s[30:31]
	s_lshl_b64 s[8:9], s[8:9], 2
	s_lshl_b64 s[10:11], s[10:11], 2
	s_delay_alu instid0(SALU_CYCLE_1)
	s_add_nc_u64 s[6:7], s[6:7], s[10:11]
	ds_load_b32 v5, v4
	s_mul_u64 s[10:11], s[12:13], s[30:31]
	s_add_nc_u64 s[6:7], s[6:7], s[8:9]
	s_lshl_b64 s[10:11], s[10:11], 2
	s_cmp_eq_u64 s[28:29], 0
	s_add_nc_u64 s[8:9], s[26:27], s[10:11]
	s_cselect_b32 s10, -1, 0
	s_cmp_lg_u64 s[28:29], 0
	s_mov_b32 s12, 0
	s_cselect_b32 s11, -1, 0
	s_wait_dscnt 0x0
	v_cmp_nlt_f32_e32 vcc_lo, 0, v5
	v_readfirstlane_b32 s1, v5
	s_cbranch_vccz .LBB10_14
; %bb.12:
	v_mov_b32_e32 v5, 1.0
	s_mov_b32 s15, 0
	s_and_b32 vcc_lo, exec_lo, s11
	global_store_b32 v4, v4, s[8:9]
	ds_store_b32 v4, v5
	s_cbranch_vccz .LBB10_15
; %bb.13:
	s_wait_xcnt 0x0
	v_mov_b32_e32 v4, 0
	s_mov_b32 s13, -1
	global_load_b32 v4, v4, s[6:7]
	s_and_b32 vcc_lo, exec_lo, s15
	s_cbranch_vccnz .LBB10_16
	s_branch .LBB10_17
.LBB10_14:
	s_mov_b32 s15, -1
.LBB10_15:
	s_mov_b32 s13, 0
                                        ; implicit-def: $vgpr4
	s_and_b32 vcc_lo, exec_lo, s15
	s_cbranch_vccz .LBB10_17
.LBB10_16:
	v_mov_b32_e32 v5, 0
	global_load_b32 v6, v5, s[6:7]
	s_wait_loadcnt 0x0
	v_readfirstlane_b32 s12, v6
	v_cmp_le_f32_e32 vcc_lo, 0, v6
	s_fmac_f32 s1, s12, s12
	s_delay_alu instid0(SALU_CYCLE_3) | instskip(SKIP_1) | instid1(SALU_CYCLE_2)
	s_mul_f32 s12, s1, 0x4f800000
	s_cmp_lt_f32 s1, 0xf800000
	s_cselect_b32 s12, s12, s1
	s_delay_alu instid0(SALU_CYCLE_1) | instskip(SKIP_1) | instid1(TRANS32_DEP_1)
	v_s_sqrt_f32 s13, s12
	s_mov_b32 s16, s12
	s_add_co_i32 s15, s13, -1
	s_delay_alu instid0(SALU_CYCLE_1) | instskip(NEXT) | instid1(SALU_CYCLE_1)
	s_xor_b32 s17, s15, 0x80000000
	s_fmac_f32 s16, s17, s13
	s_mov_b32 s17, s12
	s_delay_alu instid0(SALU_CYCLE_2) | instskip(SKIP_2) | instid1(SALU_CYCLE_1)
	s_cmp_le_f32 s16, 0
	s_cselect_b32 s15, s15, s13
	s_add_co_i32 s16, s13, 1
	s_xor_b32 s24, s16, 0x80000000
	s_delay_alu instid0(SALU_CYCLE_1) | instskip(SKIP_1) | instid1(SALU_CYCLE_2)
	s_fmac_f32 s17, s24, s13
	v_cmp_class_f32_e64 s13, s12, 0x260
	s_cmp_gt_f32 s17, 0
	s_cselect_b32 s15, s16, s15
	s_cmp_lt_f32 s1, 0xf800000
	s_mul_f32 s1, s15, 0x37800000
	s_delay_alu instid0(SALU_CYCLE_3)
	s_cselect_b32 s1, s1, s15
	s_and_b32 s13, s13, exec_lo
	s_cselect_b32 s1, s12, s1
	s_mov_b32 s13, s11
	s_xor_b32 s12, s1, 0x80000000
	s_wait_xcnt 0x1
	v_mov_b32_e32 v4, s12
	s_mov_b32 s12, s10
	s_delay_alu instid0(VALU_DEP_1) | instskip(NEXT) | instid1(VALU_DEP_1)
	v_cndmask_b32_e32 v4, s1, v4, vcc_lo
	v_sub_f32_e32 v7, v6, v4
	s_delay_alu instid0(VALU_DEP_1) | instskip(NEXT) | instid1(VALU_DEP_1)
	v_div_scale_f32 v8, null, v7, v7, 1.0
	v_rcp_f32_e32 v10, v8
	v_nop
	v_xor_b32_e32 v8, 0x80000000, v8
	s_delay_alu instid0(TRANS32_DEP_1) | instid1(VALU_DEP_1)
	v_fma_f32 v12, v8, v10, 1.0
	s_delay_alu instid0(VALU_DEP_1) | instskip(SKIP_2) | instid1(VALU_DEP_2)
	v_fmac_f32_e32 v10, v12, v10
	v_sub_f32_e32 v6, v4, v6
	v_div_scale_f32 v14, vcc_lo, 1.0, v7, 1.0
	v_div_scale_f32 v9, null, v4, v4, v6
	v_div_scale_f32 v12, s1, v6, v4, v6
	s_delay_alu instid0(VALU_DEP_2)
	v_rcp_f32_e32 v11, v9
	v_nop
	v_xor_b32_e32 v9, 0x80000000, v9
	s_delay_alu instid0(TRANS32_DEP_1) | instid1(VALU_DEP_1)
	v_fma_f32 v13, v9, v11, 1.0
	s_delay_alu instid0(VALU_DEP_1) | instskip(NEXT) | instid1(VALU_DEP_1)
	v_dual_fmac_f32 v11, v13, v11 :: v_dual_mul_f32 v13, v14, v10
	v_mul_f32_e32 v15, v12, v11
	s_delay_alu instid0(VALU_DEP_1) | instskip(NEXT) | instid1(VALU_DEP_1)
	v_dual_fma_f32 v16, v8, v13, v14 :: v_dual_fma_f32 v17, v9, v15, v12
	v_dual_fmac_f32 v13, v16, v10 :: v_dual_fmac_f32 v15, v17, v11
	s_delay_alu instid0(VALU_DEP_1) | instskip(NEXT) | instid1(VALU_DEP_1)
	v_dual_fmac_f32 v14, v8, v13 :: v_dual_fmac_f32 v12, v9, v15
	v_div_fmas_f32 v8, v14, v10, v13
	s_mov_b32 vcc_lo, s1
	s_delay_alu instid0(VALU_DEP_2) | instskip(NEXT) | instid1(VALU_DEP_2)
	v_div_fmas_f32 v9, v12, v11, v15
	v_div_fixup_f32 v7, v8, v7, 1.0
	s_delay_alu instid0(VALU_DEP_2)
	v_div_fixup_f32 v6, v9, v4, v6
	ds_store_b32 v5, v7
	global_store_b32 v5, v6, s[8:9]
.LBB10_17:
	s_and_not1_b32 vcc_lo, exec_lo, s13
	s_cbranch_vccz .LBB10_24
; %bb.18:
	s_and_not1_b32 vcc_lo, exec_lo, s12
	s_cbranch_vccnz .LBB10_20
.LBB10_19:
	s_wait_xcnt 0x0
	v_mov_b32_e32 v5, 0
	s_wait_loadcnt 0x0
	global_store_b32 v5, v4, s[6:7]
.LBB10_20:
	s_wait_xcnt 0x0
	s_or_b32 exec_lo, exec_lo, s14
	s_wait_storecnt 0x0
	s_wait_loadcnt_dscnt 0x0
	s_barrier_signal -1
	s_barrier_wait -1
	s_and_saveexec_b32 s1, s0
	s_cbranch_execz .LBB10_23
; %bb.21:
	v_mov_b32_e32 v4, 0
	s_lshl_b64 s[0:1], s[20:21], 2
	s_lshl_b64 s[4:5], s[4:5], 2
	s_add_nc_u64 s[0:1], s[18:19], s[0:1]
	s_delay_alu instid0(SALU_CYCLE_1)
	s_add_nc_u64 s[0:1], s[0:1], s[4:5]
	ds_load_b32 v4, v4
	v_lshl_add_u64 v[2:3], v[2:3], 2, s[0:1]
	s_lshl_b64 s[0:1], s[22:23], 8
	s_mov_b32 s4, 0
.LBB10_22:                              ; =>This Inner Loop Header: Depth=1
	global_load_b32 v5, v[2:3], off
	v_add_nc_u64_e32 v[0:1], 64, v[0:1]
	s_delay_alu instid0(VALU_DEP_1)
	v_cmp_le_i64_e32 vcc_lo, s[2:3], v[0:1]
	s_or_b32 s4, vcc_lo, s4
	s_wait_loadcnt_dscnt 0x0
	v_mul_f32_e32 v5, v4, v5
	global_store_b32 v[2:3], v5, off
	s_wait_xcnt 0x0
	v_add_nc_u64_e32 v[2:3], s[0:1], v[2:3]
	s_and_not1_b32 exec_lo, exec_lo, s4
	s_cbranch_execnz .LBB10_22
.LBB10_23:
	s_endpgm
.LBB10_24:
	s_wait_xcnt 0x0
	v_mov_b32_e32 v5, 0
	s_wait_loadcnt 0x0
	global_store_b32 v5, v4, s[28:29]
	s_wait_xcnt 0x0
	v_mov_b32_e32 v4, 1.0
	s_branch .LBB10_19
	.section	.rodata,"a",@progbits
	.p2align	6, 0x0
	.amdhsa_kernel _ZN9rocsolver6v33100L18larfg_kernel_smallILi64EflfPfEEvT1_T3_llPT2_llS4_lS3_lPT0_l
		.amdhsa_group_segment_fixed_size 8
		.amdhsa_private_segment_fixed_size 0
		.amdhsa_kernarg_size 104
		.amdhsa_user_sgpr_count 2
		.amdhsa_user_sgpr_dispatch_ptr 0
		.amdhsa_user_sgpr_queue_ptr 0
		.amdhsa_user_sgpr_kernarg_segment_ptr 1
		.amdhsa_user_sgpr_dispatch_id 0
		.amdhsa_user_sgpr_kernarg_preload_length 0
		.amdhsa_user_sgpr_kernarg_preload_offset 0
		.amdhsa_user_sgpr_private_segment_size 0
		.amdhsa_wavefront_size32 1
		.amdhsa_uses_dynamic_stack 0
		.amdhsa_enable_private_segment 0
		.amdhsa_system_sgpr_workgroup_id_x 1
		.amdhsa_system_sgpr_workgroup_id_y 0
		.amdhsa_system_sgpr_workgroup_id_z 1
		.amdhsa_system_sgpr_workgroup_info 0
		.amdhsa_system_vgpr_workitem_id 0
		.amdhsa_next_free_vgpr 18
		.amdhsa_next_free_sgpr 32
		.amdhsa_named_barrier_count 0
		.amdhsa_reserve_vcc 1
		.amdhsa_float_round_mode_32 0
		.amdhsa_float_round_mode_16_64 0
		.amdhsa_float_denorm_mode_32 3
		.amdhsa_float_denorm_mode_16_64 3
		.amdhsa_fp16_overflow 0
		.amdhsa_memory_ordered 1
		.amdhsa_forward_progress 1
		.amdhsa_inst_pref_size 12
		.amdhsa_round_robin_scheduling 0
		.amdhsa_exception_fp_ieee_invalid_op 0
		.amdhsa_exception_fp_denorm_src 0
		.amdhsa_exception_fp_ieee_div_zero 0
		.amdhsa_exception_fp_ieee_overflow 0
		.amdhsa_exception_fp_ieee_underflow 0
		.amdhsa_exception_fp_ieee_inexact 0
		.amdhsa_exception_int_div_zero 0
	.end_amdhsa_kernel
	.section	.text._ZN9rocsolver6v33100L18larfg_kernel_smallILi64EflfPfEEvT1_T3_llPT2_llS4_lS3_lPT0_l,"axG",@progbits,_ZN9rocsolver6v33100L18larfg_kernel_smallILi64EflfPfEEvT1_T3_llPT2_llS4_lS3_lPT0_l,comdat
.Lfunc_end10:
	.size	_ZN9rocsolver6v33100L18larfg_kernel_smallILi64EflfPfEEvT1_T3_llPT2_llS4_lS3_lPT0_l, .Lfunc_end10-_ZN9rocsolver6v33100L18larfg_kernel_smallILi64EflfPfEEvT1_T3_llPT2_llS4_lS3_lPT0_l
                                        ; -- End function
	.set _ZN9rocsolver6v33100L18larfg_kernel_smallILi64EflfPfEEvT1_T3_llPT2_llS4_lS3_lPT0_l.num_vgpr, 18
	.set _ZN9rocsolver6v33100L18larfg_kernel_smallILi64EflfPfEEvT1_T3_llPT2_llS4_lS3_lPT0_l.num_agpr, 0
	.set _ZN9rocsolver6v33100L18larfg_kernel_smallILi64EflfPfEEvT1_T3_llPT2_llS4_lS3_lPT0_l.numbered_sgpr, 32
	.set _ZN9rocsolver6v33100L18larfg_kernel_smallILi64EflfPfEEvT1_T3_llPT2_llS4_lS3_lPT0_l.num_named_barrier, 0
	.set _ZN9rocsolver6v33100L18larfg_kernel_smallILi64EflfPfEEvT1_T3_llPT2_llS4_lS3_lPT0_l.private_seg_size, 0
	.set _ZN9rocsolver6v33100L18larfg_kernel_smallILi64EflfPfEEvT1_T3_llPT2_llS4_lS3_lPT0_l.uses_vcc, 1
	.set _ZN9rocsolver6v33100L18larfg_kernel_smallILi64EflfPfEEvT1_T3_llPT2_llS4_lS3_lPT0_l.uses_flat_scratch, 0
	.set _ZN9rocsolver6v33100L18larfg_kernel_smallILi64EflfPfEEvT1_T3_llPT2_llS4_lS3_lPT0_l.has_dyn_sized_stack, 0
	.set _ZN9rocsolver6v33100L18larfg_kernel_smallILi64EflfPfEEvT1_T3_llPT2_llS4_lS3_lPT0_l.has_recursion, 0
	.set _ZN9rocsolver6v33100L18larfg_kernel_smallILi64EflfPfEEvT1_T3_llPT2_llS4_lS3_lPT0_l.has_indirect_call, 0
	.section	.AMDGPU.csdata,"",@progbits
; Kernel info:
; codeLenInByte = 1412
; TotalNumSgprs: 34
; NumVgprs: 18
; ScratchSize: 0
; MemoryBound: 0
; FloatMode: 240
; IeeeMode: 1
; LDSByteSize: 8 bytes/workgroup (compile time only)
; SGPRBlocks: 0
; VGPRBlocks: 1
; NumSGPRsForWavesPerEU: 34
; NumVGPRsForWavesPerEU: 18
; NamedBarCnt: 0
; Occupancy: 16
; WaveLimiterHint : 0
; COMPUTE_PGM_RSRC2:SCRATCH_EN: 0
; COMPUTE_PGM_RSRC2:USER_SGPR: 2
; COMPUTE_PGM_RSRC2:TRAP_HANDLER: 0
; COMPUTE_PGM_RSRC2:TGID_X_EN: 1
; COMPUTE_PGM_RSRC2:TGID_Y_EN: 0
; COMPUTE_PGM_RSRC2:TGID_Z_EN: 1
; COMPUTE_PGM_RSRC2:TIDIG_COMP_CNT: 0
	.section	.text._ZN9rocsolver6v33100L18larfg_kernel_smallILi128EflfPfEEvT1_T3_llPT2_llS4_lS3_lPT0_l,"axG",@progbits,_ZN9rocsolver6v33100L18larfg_kernel_smallILi128EflfPfEEvT1_T3_llPT2_llS4_lS3_lPT0_l,comdat
	.globl	_ZN9rocsolver6v33100L18larfg_kernel_smallILi128EflfPfEEvT1_T3_llPT2_llS4_lS3_lPT0_l ; -- Begin function _ZN9rocsolver6v33100L18larfg_kernel_smallILi128EflfPfEEvT1_T3_llPT2_llS4_lS3_lPT0_l
	.p2align	8
	.type	_ZN9rocsolver6v33100L18larfg_kernel_smallILi128EflfPfEEvT1_T3_llPT2_llS4_lS3_lPT0_l,@function
_ZN9rocsolver6v33100L18larfg_kernel_smallILi128EflfPfEEvT1_T3_llPT2_llS4_lS3_lPT0_l: ; @_ZN9rocsolver6v33100L18larfg_kernel_smallILi128EflfPfEEvT1_T3_llPT2_llS4_lS3_lPT0_l
; %bb.0:
	s_load_b512 s[4:19], s[0:1], 0x0
	s_bfe_u32 s2, ttmp6, 0x40014
	s_lshr_b32 s3, ttmp7, 16
	s_add_co_i32 s2, s2, 1
	s_bfe_u32 s20, ttmp6, 0x40008
	s_mul_i32 s2, s3, s2
	s_getreg_b32 s21, hwreg(HW_REG_IB_STS2, 6, 4)
	s_add_co_i32 s20, s20, s2
	s_cmp_eq_u32 s21, 0
	s_mov_b32 s31, 0
	s_cselect_b32 s30, s3, s20
	s_mov_b64 s[28:29], 0
	s_wait_kmcnt 0x0
	s_cmp_eq_u64 s[12:13], 0
	s_cbranch_scc1 .LBB11_2
; %bb.1:
	s_mul_u64 s[2:3], s[16:17], s[30:31]
	s_delay_alu instid0(SALU_CYCLE_1) | instskip(NEXT) | instid1(SALU_CYCLE_1)
	s_lshl_b64 s[2:3], s[2:3], 2
	s_add_nc_u64 s[2:3], s[12:13], s[2:3]
	s_lshl_b64 s[12:13], s[14:15], 2
	s_delay_alu instid0(SALU_CYCLE_1)
	s_add_nc_u64 s[28:29], s[2:3], s[12:13]
.LBB11_2:
	s_load_b256 s[20:27], s[0:1], 0x40
	v_mov_b32_e32 v1, 0
	s_load_b64 s[12:13], s[0:1], 0x60
	s_add_nc_u64 s[2:3], s[4:5], -1
	s_wait_xcnt 0x0
	s_delay_alu instid0(VALU_DEP_1)
	v_cmp_gt_i64_e64 s0, s[2:3], v[0:1]
	v_mov_b32_e32 v8, v1
	s_wait_kmcnt 0x0
	v_mul_u64_e32 v[2:3], s[22:23], v[0:1]
	s_mul_u64 s[4:5], s[24:25], s[30:31]
	s_and_saveexec_b32 s1, s0
	s_cbranch_execz .LBB11_6
; %bb.3:
	s_lshl_b64 s[14:15], s[20:21], 2
	s_lshl_b64 s[16:17], s[4:5], 2
	s_add_nc_u64 s[14:15], s[18:19], s[14:15]
	v_mov_b64_e32 v[6:7], v[0:1]
	s_add_nc_u64 s[14:15], s[14:15], s[16:17]
	v_mov_b32_e32 v8, 0
	s_delay_alu instid0(VALU_DEP_3)
	v_lshl_add_u64 v[4:5], v[2:3], 2, s[14:15]
	s_lshl_b64 s[14:15], s[22:23], 9
	s_mov_b32 s16, 0
.LBB11_4:                               ; =>This Inner Loop Header: Depth=1
	global_load_b32 v9, v[4:5], off
	v_add_nc_u64_e32 v[6:7], 0x80, v[6:7]
	s_wait_xcnt 0x0
	v_add_nc_u64_e32 v[4:5], s[14:15], v[4:5]
	s_delay_alu instid0(VALU_DEP_2)
	v_cmp_le_i64_e32 vcc_lo, s[2:3], v[6:7]
	s_or_b32 s16, vcc_lo, s16
	s_wait_loadcnt 0x0
	v_fmac_f32_e32 v8, v9, v9
	s_and_not1_b32 exec_lo, exec_lo, s16
	s_cbranch_execnz .LBB11_4
; %bb.5:
	s_or_b32 exec_lo, exec_lo, s16
.LBB11_6:
	s_delay_alu instid0(SALU_CYCLE_1) | instskip(SKIP_2) | instid1(VALU_DEP_1)
	s_or_b32 exec_lo, exec_lo, s1
	v_mbcnt_lo_u32_b32 v4, -1, 0
	s_mov_b32 s1, exec_lo
	v_cmp_ne_u32_e32 vcc_lo, 31, v4
	v_add_co_ci_u32_e64 v5, null, 0, v4, vcc_lo
	v_cmp_gt_u32_e32 vcc_lo, 30, v4
	s_delay_alu instid0(VALU_DEP_2)
	v_lshlrev_b32_e32 v5, 2, v5
	v_cndmask_b32_e64 v6, 0, 2, vcc_lo
	v_cmp_gt_u32_e32 vcc_lo, 28, v4
	ds_bpermute_b32 v5, v5, v8
	v_add_lshl_u32 v6, v6, v4, 2
	v_cndmask_b32_e64 v7, 0, 4, vcc_lo
	v_cmp_gt_u32_e32 vcc_lo, 24, v4
	s_delay_alu instid0(VALU_DEP_2)
	v_add_lshl_u32 v7, v7, v4, 2
	s_wait_dscnt 0x0
	v_add_f32_e32 v5, v8, v5
	ds_bpermute_b32 v6, v6, v5
	s_wait_dscnt 0x0
	v_add_f32_e32 v5, v5, v6
	ds_bpermute_b32 v6, v7, v5
	v_cndmask_b32_e64 v7, 0, 8, vcc_lo
	s_delay_alu instid0(VALU_DEP_1)
	v_add_lshl_u32 v7, v7, v4, 2
	v_lshl_or_b32 v4, v4, 2, 64
	s_wait_dscnt 0x0
	v_add_f32_e32 v5, v5, v6
	ds_bpermute_b32 v6, v7, v5
	s_wait_dscnt 0x0
	v_dual_add_f32 v5, v5, v6 :: v_dual_bitop2_b32 v6, 31, v0 bitop3:0x40
	ds_bpermute_b32 v4, v4, v5
	s_wait_dscnt 0x0
	v_add_f32_e32 v4, v5, v4
	v_cmpx_eq_u32_e32 0, v6
; %bb.7:
	v_lshrrev_b32_e32 v5, 3, v0
	ds_store_b32 v5, v4
; %bb.8:
	s_or_b32 exec_lo, exec_lo, s1
	v_cmp_eq_u32_e32 vcc_lo, 0, v0
	s_wait_dscnt 0x0
	s_barrier_signal -1
	s_barrier_wait -1
	s_and_saveexec_b32 s1, vcc_lo
	s_cbranch_execz .LBB11_10
; %bb.9:
	v_mov_b32_e32 v5, 0
	ds_load_2addr_b32 v[6:7], v5 offset0:1 offset1:2
	ds_load_b32 v8, v5 offset:12
	s_wait_dscnt 0x1
	v_add_f32_e32 v4, v4, v6
	s_delay_alu instid0(VALU_DEP_1) | instskip(SKIP_1) | instid1(VALU_DEP_1)
	v_add_f32_e32 v4, v4, v7
	s_wait_dscnt 0x0
	v_add_f32_e32 v4, v4, v8
	ds_store_b32 v5, v4
.LBB11_10:
	s_or_b32 exec_lo, exec_lo, s1
	s_wait_dscnt 0x0
	s_barrier_signal -1
	s_barrier_wait -1
	s_and_saveexec_b32 s14, vcc_lo
	s_cbranch_execz .LBB11_20
; %bb.11:
	v_mov_b32_e32 v4, 0
	s_mul_u64 s[10:11], s[10:11], s[30:31]
	s_lshl_b64 s[8:9], s[8:9], 2
	s_lshl_b64 s[10:11], s[10:11], 2
	s_delay_alu instid0(SALU_CYCLE_1)
	s_add_nc_u64 s[6:7], s[6:7], s[10:11]
	ds_load_b32 v5, v4
	s_mul_u64 s[10:11], s[12:13], s[30:31]
	s_add_nc_u64 s[6:7], s[6:7], s[8:9]
	s_lshl_b64 s[10:11], s[10:11], 2
	s_cmp_eq_u64 s[28:29], 0
	s_add_nc_u64 s[8:9], s[26:27], s[10:11]
	s_cselect_b32 s10, -1, 0
	s_cmp_lg_u64 s[28:29], 0
	s_mov_b32 s12, 0
	s_cselect_b32 s11, -1, 0
	s_wait_dscnt 0x0
	v_cmp_nlt_f32_e32 vcc_lo, 0, v5
	v_readfirstlane_b32 s1, v5
	s_cbranch_vccz .LBB11_14
; %bb.12:
	v_mov_b32_e32 v5, 1.0
	s_mov_b32 s15, 0
	s_and_b32 vcc_lo, exec_lo, s11
	global_store_b32 v4, v4, s[8:9]
	ds_store_b32 v4, v5
	s_cbranch_vccz .LBB11_15
; %bb.13:
	s_wait_xcnt 0x0
	v_mov_b32_e32 v4, 0
	s_mov_b32 s13, -1
	global_load_b32 v4, v4, s[6:7]
	s_and_b32 vcc_lo, exec_lo, s15
	s_cbranch_vccnz .LBB11_16
	s_branch .LBB11_17
.LBB11_14:
	s_mov_b32 s15, -1
.LBB11_15:
	s_mov_b32 s13, 0
                                        ; implicit-def: $vgpr4
	s_and_b32 vcc_lo, exec_lo, s15
	s_cbranch_vccz .LBB11_17
.LBB11_16:
	v_mov_b32_e32 v5, 0
	global_load_b32 v6, v5, s[6:7]
	s_wait_loadcnt 0x0
	v_readfirstlane_b32 s12, v6
	v_cmp_le_f32_e32 vcc_lo, 0, v6
	s_fmac_f32 s1, s12, s12
	s_delay_alu instid0(SALU_CYCLE_3) | instskip(SKIP_1) | instid1(SALU_CYCLE_2)
	s_mul_f32 s12, s1, 0x4f800000
	s_cmp_lt_f32 s1, 0xf800000
	s_cselect_b32 s12, s12, s1
	s_delay_alu instid0(SALU_CYCLE_1) | instskip(SKIP_1) | instid1(TRANS32_DEP_1)
	v_s_sqrt_f32 s13, s12
	s_mov_b32 s16, s12
	s_add_co_i32 s15, s13, -1
	s_delay_alu instid0(SALU_CYCLE_1) | instskip(NEXT) | instid1(SALU_CYCLE_1)
	s_xor_b32 s17, s15, 0x80000000
	s_fmac_f32 s16, s17, s13
	s_mov_b32 s17, s12
	s_delay_alu instid0(SALU_CYCLE_2) | instskip(SKIP_2) | instid1(SALU_CYCLE_1)
	s_cmp_le_f32 s16, 0
	s_cselect_b32 s15, s15, s13
	s_add_co_i32 s16, s13, 1
	s_xor_b32 s24, s16, 0x80000000
	s_delay_alu instid0(SALU_CYCLE_1) | instskip(SKIP_1) | instid1(SALU_CYCLE_2)
	s_fmac_f32 s17, s24, s13
	v_cmp_class_f32_e64 s13, s12, 0x260
	s_cmp_gt_f32 s17, 0
	s_cselect_b32 s15, s16, s15
	s_cmp_lt_f32 s1, 0xf800000
	s_mul_f32 s1, s15, 0x37800000
	s_delay_alu instid0(SALU_CYCLE_3)
	s_cselect_b32 s1, s1, s15
	s_and_b32 s13, s13, exec_lo
	s_cselect_b32 s1, s12, s1
	s_mov_b32 s13, s11
	s_xor_b32 s12, s1, 0x80000000
	s_wait_xcnt 0x1
	v_mov_b32_e32 v4, s12
	s_mov_b32 s12, s10
	s_delay_alu instid0(VALU_DEP_1) | instskip(NEXT) | instid1(VALU_DEP_1)
	v_cndmask_b32_e32 v4, s1, v4, vcc_lo
	v_sub_f32_e32 v7, v6, v4
	s_delay_alu instid0(VALU_DEP_1) | instskip(NEXT) | instid1(VALU_DEP_1)
	v_div_scale_f32 v8, null, v7, v7, 1.0
	v_rcp_f32_e32 v10, v8
	v_nop
	v_xor_b32_e32 v8, 0x80000000, v8
	s_delay_alu instid0(TRANS32_DEP_1) | instid1(VALU_DEP_1)
	v_fma_f32 v12, v8, v10, 1.0
	s_delay_alu instid0(VALU_DEP_1) | instskip(SKIP_2) | instid1(VALU_DEP_2)
	v_fmac_f32_e32 v10, v12, v10
	v_sub_f32_e32 v6, v4, v6
	v_div_scale_f32 v14, vcc_lo, 1.0, v7, 1.0
	v_div_scale_f32 v9, null, v4, v4, v6
	v_div_scale_f32 v12, s1, v6, v4, v6
	s_delay_alu instid0(VALU_DEP_2)
	v_rcp_f32_e32 v11, v9
	v_nop
	v_xor_b32_e32 v9, 0x80000000, v9
	s_delay_alu instid0(TRANS32_DEP_1) | instid1(VALU_DEP_1)
	v_fma_f32 v13, v9, v11, 1.0
	s_delay_alu instid0(VALU_DEP_1) | instskip(NEXT) | instid1(VALU_DEP_1)
	v_dual_fmac_f32 v11, v13, v11 :: v_dual_mul_f32 v13, v14, v10
	v_mul_f32_e32 v15, v12, v11
	s_delay_alu instid0(VALU_DEP_1) | instskip(NEXT) | instid1(VALU_DEP_1)
	v_dual_fma_f32 v16, v8, v13, v14 :: v_dual_fma_f32 v17, v9, v15, v12
	v_dual_fmac_f32 v13, v16, v10 :: v_dual_fmac_f32 v15, v17, v11
	s_delay_alu instid0(VALU_DEP_1) | instskip(NEXT) | instid1(VALU_DEP_1)
	v_dual_fmac_f32 v14, v8, v13 :: v_dual_fmac_f32 v12, v9, v15
	v_div_fmas_f32 v8, v14, v10, v13
	s_mov_b32 vcc_lo, s1
	s_delay_alu instid0(VALU_DEP_2) | instskip(NEXT) | instid1(VALU_DEP_2)
	v_div_fmas_f32 v9, v12, v11, v15
	v_div_fixup_f32 v7, v8, v7, 1.0
	s_delay_alu instid0(VALU_DEP_2)
	v_div_fixup_f32 v6, v9, v4, v6
	ds_store_b32 v5, v7
	global_store_b32 v5, v6, s[8:9]
.LBB11_17:
	s_and_not1_b32 vcc_lo, exec_lo, s13
	s_cbranch_vccz .LBB11_24
; %bb.18:
	s_and_not1_b32 vcc_lo, exec_lo, s12
	s_cbranch_vccnz .LBB11_20
.LBB11_19:
	s_wait_xcnt 0x0
	v_mov_b32_e32 v5, 0
	s_wait_loadcnt 0x0
	global_store_b32 v5, v4, s[6:7]
.LBB11_20:
	s_wait_xcnt 0x0
	s_or_b32 exec_lo, exec_lo, s14
	s_wait_storecnt 0x0
	s_wait_loadcnt_dscnt 0x0
	s_barrier_signal -1
	s_barrier_wait -1
	s_and_saveexec_b32 s1, s0
	s_cbranch_execz .LBB11_23
; %bb.21:
	v_mov_b32_e32 v4, 0
	s_lshl_b64 s[0:1], s[20:21], 2
	s_lshl_b64 s[4:5], s[4:5], 2
	s_add_nc_u64 s[0:1], s[18:19], s[0:1]
	s_delay_alu instid0(SALU_CYCLE_1)
	s_add_nc_u64 s[0:1], s[0:1], s[4:5]
	ds_load_b32 v4, v4
	v_lshl_add_u64 v[2:3], v[2:3], 2, s[0:1]
	s_lshl_b64 s[0:1], s[22:23], 9
	s_mov_b32 s4, 0
.LBB11_22:                              ; =>This Inner Loop Header: Depth=1
	global_load_b32 v5, v[2:3], off
	v_add_nc_u64_e32 v[0:1], 0x80, v[0:1]
	s_delay_alu instid0(VALU_DEP_1)
	v_cmp_le_i64_e32 vcc_lo, s[2:3], v[0:1]
	s_or_b32 s4, vcc_lo, s4
	s_wait_loadcnt_dscnt 0x0
	v_mul_f32_e32 v5, v4, v5
	global_store_b32 v[2:3], v5, off
	s_wait_xcnt 0x0
	v_add_nc_u64_e32 v[2:3], s[0:1], v[2:3]
	s_and_not1_b32 exec_lo, exec_lo, s4
	s_cbranch_execnz .LBB11_22
.LBB11_23:
	s_endpgm
.LBB11_24:
	s_wait_xcnt 0x0
	v_mov_b32_e32 v5, 0
	s_wait_loadcnt 0x0
	global_store_b32 v5, v4, s[28:29]
	s_wait_xcnt 0x0
	v_mov_b32_e32 v4, 1.0
	s_branch .LBB11_19
	.section	.rodata,"a",@progbits
	.p2align	6, 0x0
	.amdhsa_kernel _ZN9rocsolver6v33100L18larfg_kernel_smallILi128EflfPfEEvT1_T3_llPT2_llS4_lS3_lPT0_l
		.amdhsa_group_segment_fixed_size 16
		.amdhsa_private_segment_fixed_size 0
		.amdhsa_kernarg_size 104
		.amdhsa_user_sgpr_count 2
		.amdhsa_user_sgpr_dispatch_ptr 0
		.amdhsa_user_sgpr_queue_ptr 0
		.amdhsa_user_sgpr_kernarg_segment_ptr 1
		.amdhsa_user_sgpr_dispatch_id 0
		.amdhsa_user_sgpr_kernarg_preload_length 0
		.amdhsa_user_sgpr_kernarg_preload_offset 0
		.amdhsa_user_sgpr_private_segment_size 0
		.amdhsa_wavefront_size32 1
		.amdhsa_uses_dynamic_stack 0
		.amdhsa_enable_private_segment 0
		.amdhsa_system_sgpr_workgroup_id_x 1
		.amdhsa_system_sgpr_workgroup_id_y 0
		.amdhsa_system_sgpr_workgroup_id_z 1
		.amdhsa_system_sgpr_workgroup_info 0
		.amdhsa_system_vgpr_workitem_id 0
		.amdhsa_next_free_vgpr 18
		.amdhsa_next_free_sgpr 32
		.amdhsa_named_barrier_count 0
		.amdhsa_reserve_vcc 1
		.amdhsa_float_round_mode_32 0
		.amdhsa_float_round_mode_16_64 0
		.amdhsa_float_denorm_mode_32 3
		.amdhsa_float_denorm_mode_16_64 3
		.amdhsa_fp16_overflow 0
		.amdhsa_memory_ordered 1
		.amdhsa_forward_progress 1
		.amdhsa_inst_pref_size 12
		.amdhsa_round_robin_scheduling 0
		.amdhsa_exception_fp_ieee_invalid_op 0
		.amdhsa_exception_fp_denorm_src 0
		.amdhsa_exception_fp_ieee_div_zero 0
		.amdhsa_exception_fp_ieee_overflow 0
		.amdhsa_exception_fp_ieee_underflow 0
		.amdhsa_exception_fp_ieee_inexact 0
		.amdhsa_exception_int_div_zero 0
	.end_amdhsa_kernel
	.section	.text._ZN9rocsolver6v33100L18larfg_kernel_smallILi128EflfPfEEvT1_T3_llPT2_llS4_lS3_lPT0_l,"axG",@progbits,_ZN9rocsolver6v33100L18larfg_kernel_smallILi128EflfPfEEvT1_T3_llPT2_llS4_lS3_lPT0_l,comdat
.Lfunc_end11:
	.size	_ZN9rocsolver6v33100L18larfg_kernel_smallILi128EflfPfEEvT1_T3_llPT2_llS4_lS3_lPT0_l, .Lfunc_end11-_ZN9rocsolver6v33100L18larfg_kernel_smallILi128EflfPfEEvT1_T3_llPT2_llS4_lS3_lPT0_l
                                        ; -- End function
	.set _ZN9rocsolver6v33100L18larfg_kernel_smallILi128EflfPfEEvT1_T3_llPT2_llS4_lS3_lPT0_l.num_vgpr, 18
	.set _ZN9rocsolver6v33100L18larfg_kernel_smallILi128EflfPfEEvT1_T3_llPT2_llS4_lS3_lPT0_l.num_agpr, 0
	.set _ZN9rocsolver6v33100L18larfg_kernel_smallILi128EflfPfEEvT1_T3_llPT2_llS4_lS3_lPT0_l.numbered_sgpr, 32
	.set _ZN9rocsolver6v33100L18larfg_kernel_smallILi128EflfPfEEvT1_T3_llPT2_llS4_lS3_lPT0_l.num_named_barrier, 0
	.set _ZN9rocsolver6v33100L18larfg_kernel_smallILi128EflfPfEEvT1_T3_llPT2_llS4_lS3_lPT0_l.private_seg_size, 0
	.set _ZN9rocsolver6v33100L18larfg_kernel_smallILi128EflfPfEEvT1_T3_llPT2_llS4_lS3_lPT0_l.uses_vcc, 1
	.set _ZN9rocsolver6v33100L18larfg_kernel_smallILi128EflfPfEEvT1_T3_llPT2_llS4_lS3_lPT0_l.uses_flat_scratch, 0
	.set _ZN9rocsolver6v33100L18larfg_kernel_smallILi128EflfPfEEvT1_T3_llPT2_llS4_lS3_lPT0_l.has_dyn_sized_stack, 0
	.set _ZN9rocsolver6v33100L18larfg_kernel_smallILi128EflfPfEEvT1_T3_llPT2_llS4_lS3_lPT0_l.has_recursion, 0
	.set _ZN9rocsolver6v33100L18larfg_kernel_smallILi128EflfPfEEvT1_T3_llPT2_llS4_lS3_lPT0_l.has_indirect_call, 0
	.section	.AMDGPU.csdata,"",@progbits
; Kernel info:
; codeLenInByte = 1444
; TotalNumSgprs: 34
; NumVgprs: 18
; ScratchSize: 0
; MemoryBound: 0
; FloatMode: 240
; IeeeMode: 1
; LDSByteSize: 16 bytes/workgroup (compile time only)
; SGPRBlocks: 0
; VGPRBlocks: 1
; NumSGPRsForWavesPerEU: 34
; NumVGPRsForWavesPerEU: 18
; NamedBarCnt: 0
; Occupancy: 16
; WaveLimiterHint : 0
; COMPUTE_PGM_RSRC2:SCRATCH_EN: 0
; COMPUTE_PGM_RSRC2:USER_SGPR: 2
; COMPUTE_PGM_RSRC2:TRAP_HANDLER: 0
; COMPUTE_PGM_RSRC2:TGID_X_EN: 1
; COMPUTE_PGM_RSRC2:TGID_Y_EN: 0
; COMPUTE_PGM_RSRC2:TGID_Z_EN: 1
; COMPUTE_PGM_RSRC2:TIDIG_COMP_CNT: 0
	.section	.text._ZN9rocsolver6v33100L18larfg_kernel_smallILi256EflfPfEEvT1_T3_llPT2_llS4_lS3_lPT0_l,"axG",@progbits,_ZN9rocsolver6v33100L18larfg_kernel_smallILi256EflfPfEEvT1_T3_llPT2_llS4_lS3_lPT0_l,comdat
	.globl	_ZN9rocsolver6v33100L18larfg_kernel_smallILi256EflfPfEEvT1_T3_llPT2_llS4_lS3_lPT0_l ; -- Begin function _ZN9rocsolver6v33100L18larfg_kernel_smallILi256EflfPfEEvT1_T3_llPT2_llS4_lS3_lPT0_l
	.p2align	8
	.type	_ZN9rocsolver6v33100L18larfg_kernel_smallILi256EflfPfEEvT1_T3_llPT2_llS4_lS3_lPT0_l,@function
_ZN9rocsolver6v33100L18larfg_kernel_smallILi256EflfPfEEvT1_T3_llPT2_llS4_lS3_lPT0_l: ; @_ZN9rocsolver6v33100L18larfg_kernel_smallILi256EflfPfEEvT1_T3_llPT2_llS4_lS3_lPT0_l
; %bb.0:
	s_load_b512 s[4:19], s[0:1], 0x0
	s_bfe_u32 s2, ttmp6, 0x40014
	s_lshr_b32 s3, ttmp7, 16
	s_add_co_i32 s2, s2, 1
	s_bfe_u32 s20, ttmp6, 0x40008
	s_mul_i32 s2, s3, s2
	s_getreg_b32 s21, hwreg(HW_REG_IB_STS2, 6, 4)
	s_add_co_i32 s20, s20, s2
	s_cmp_eq_u32 s21, 0
	s_mov_b32 s31, 0
	s_cselect_b32 s30, s3, s20
	s_mov_b64 s[28:29], 0
	s_wait_kmcnt 0x0
	s_cmp_eq_u64 s[12:13], 0
	s_cbranch_scc1 .LBB12_2
; %bb.1:
	s_mul_u64 s[2:3], s[16:17], s[30:31]
	s_delay_alu instid0(SALU_CYCLE_1) | instskip(NEXT) | instid1(SALU_CYCLE_1)
	s_lshl_b64 s[2:3], s[2:3], 2
	s_add_nc_u64 s[2:3], s[12:13], s[2:3]
	s_lshl_b64 s[12:13], s[14:15], 2
	s_delay_alu instid0(SALU_CYCLE_1)
	s_add_nc_u64 s[28:29], s[2:3], s[12:13]
.LBB12_2:
	s_load_b256 s[20:27], s[0:1], 0x40
	v_mov_b32_e32 v1, 0
	s_load_b64 s[12:13], s[0:1], 0x60
	s_add_nc_u64 s[2:3], s[4:5], -1
	s_wait_xcnt 0x0
	s_delay_alu instid0(VALU_DEP_1)
	v_cmp_gt_i64_e64 s0, s[2:3], v[0:1]
	v_mov_b32_e32 v8, v1
	s_wait_kmcnt 0x0
	v_mul_u64_e32 v[2:3], s[22:23], v[0:1]
	s_mul_u64 s[4:5], s[24:25], s[30:31]
	s_and_saveexec_b32 s1, s0
	s_cbranch_execz .LBB12_6
; %bb.3:
	s_lshl_b64 s[14:15], s[20:21], 2
	s_lshl_b64 s[16:17], s[4:5], 2
	s_add_nc_u64 s[14:15], s[18:19], s[14:15]
	v_mov_b64_e32 v[6:7], v[0:1]
	s_add_nc_u64 s[14:15], s[14:15], s[16:17]
	v_mov_b32_e32 v8, 0
	s_delay_alu instid0(VALU_DEP_3)
	v_lshl_add_u64 v[4:5], v[2:3], 2, s[14:15]
	s_lshl_b64 s[14:15], s[22:23], 10
	s_mov_b32 s16, 0
.LBB12_4:                               ; =>This Inner Loop Header: Depth=1
	global_load_b32 v9, v[4:5], off
	v_add_nc_u64_e32 v[6:7], 0x100, v[6:7]
	s_wait_xcnt 0x0
	v_add_nc_u64_e32 v[4:5], s[14:15], v[4:5]
	s_delay_alu instid0(VALU_DEP_2)
	v_cmp_le_i64_e32 vcc_lo, s[2:3], v[6:7]
	s_or_b32 s16, vcc_lo, s16
	s_wait_loadcnt 0x0
	v_fmac_f32_e32 v8, v9, v9
	s_and_not1_b32 exec_lo, exec_lo, s16
	s_cbranch_execnz .LBB12_4
; %bb.5:
	s_or_b32 exec_lo, exec_lo, s16
.LBB12_6:
	s_delay_alu instid0(SALU_CYCLE_1) | instskip(SKIP_2) | instid1(VALU_DEP_1)
	s_or_b32 exec_lo, exec_lo, s1
	v_mbcnt_lo_u32_b32 v4, -1, 0
	s_mov_b32 s1, exec_lo
	v_cmp_ne_u32_e32 vcc_lo, 31, v4
	v_add_co_ci_u32_e64 v5, null, 0, v4, vcc_lo
	v_cmp_gt_u32_e32 vcc_lo, 30, v4
	s_delay_alu instid0(VALU_DEP_2)
	v_lshlrev_b32_e32 v5, 2, v5
	v_cndmask_b32_e64 v6, 0, 2, vcc_lo
	v_cmp_gt_u32_e32 vcc_lo, 28, v4
	ds_bpermute_b32 v5, v5, v8
	v_add_lshl_u32 v6, v6, v4, 2
	v_cndmask_b32_e64 v7, 0, 4, vcc_lo
	v_cmp_gt_u32_e32 vcc_lo, 24, v4
	s_delay_alu instid0(VALU_DEP_2)
	v_add_lshl_u32 v7, v7, v4, 2
	s_wait_dscnt 0x0
	v_add_f32_e32 v5, v8, v5
	ds_bpermute_b32 v6, v6, v5
	s_wait_dscnt 0x0
	v_add_f32_e32 v5, v5, v6
	ds_bpermute_b32 v6, v7, v5
	v_cndmask_b32_e64 v7, 0, 8, vcc_lo
	s_delay_alu instid0(VALU_DEP_1)
	v_add_lshl_u32 v7, v7, v4, 2
	v_lshl_or_b32 v4, v4, 2, 64
	s_wait_dscnt 0x0
	v_add_f32_e32 v5, v5, v6
	ds_bpermute_b32 v6, v7, v5
	s_wait_dscnt 0x0
	v_dual_add_f32 v5, v5, v6 :: v_dual_bitop2_b32 v6, 31, v0 bitop3:0x40
	ds_bpermute_b32 v4, v4, v5
	s_wait_dscnt 0x0
	v_add_f32_e32 v4, v5, v4
	v_cmpx_eq_u32_e32 0, v6
; %bb.7:
	v_lshrrev_b32_e32 v5, 3, v0
	ds_store_b32 v5, v4
; %bb.8:
	s_or_b32 exec_lo, exec_lo, s1
	v_cmp_eq_u32_e32 vcc_lo, 0, v0
	s_wait_dscnt 0x0
	s_barrier_signal -1
	s_barrier_wait -1
	s_and_saveexec_b32 s1, vcc_lo
	s_cbranch_execz .LBB12_10
; %bb.9:
	v_mov_b32_e32 v5, 0
	ds_load_2addr_b32 v[6:7], v5 offset0:1 offset1:2
	ds_load_2addr_b32 v[8:9], v5 offset0:3 offset1:4
	;; [unrolled: 1-line block ×3, first 2 shown]
	ds_load_b32 v12, v5 offset:28
	s_wait_dscnt 0x3
	v_add_f32_e32 v4, v4, v6
	s_delay_alu instid0(VALU_DEP_1) | instskip(SKIP_1) | instid1(VALU_DEP_1)
	v_add_f32_e32 v4, v4, v7
	s_wait_dscnt 0x2
	v_add_f32_e32 v4, v4, v8
	s_delay_alu instid0(VALU_DEP_1) | instskip(SKIP_1) | instid1(VALU_DEP_1)
	v_add_f32_e32 v4, v4, v9
	;; [unrolled: 4-line block ×3, first 2 shown]
	s_wait_dscnt 0x0
	v_add_f32_e32 v4, v4, v12
	ds_store_b32 v5, v4
.LBB12_10:
	s_or_b32 exec_lo, exec_lo, s1
	s_wait_dscnt 0x0
	s_barrier_signal -1
	s_barrier_wait -1
	s_and_saveexec_b32 s14, vcc_lo
	s_cbranch_execz .LBB12_20
; %bb.11:
	v_mov_b32_e32 v4, 0
	s_mul_u64 s[10:11], s[10:11], s[30:31]
	s_lshl_b64 s[8:9], s[8:9], 2
	s_lshl_b64 s[10:11], s[10:11], 2
	s_delay_alu instid0(SALU_CYCLE_1)
	s_add_nc_u64 s[6:7], s[6:7], s[10:11]
	ds_load_b32 v5, v4
	s_mul_u64 s[10:11], s[12:13], s[30:31]
	s_add_nc_u64 s[6:7], s[6:7], s[8:9]
	s_lshl_b64 s[10:11], s[10:11], 2
	s_cmp_eq_u64 s[28:29], 0
	s_add_nc_u64 s[8:9], s[26:27], s[10:11]
	s_cselect_b32 s10, -1, 0
	s_cmp_lg_u64 s[28:29], 0
	s_mov_b32 s12, 0
	s_cselect_b32 s11, -1, 0
	s_wait_dscnt 0x0
	v_cmp_nlt_f32_e32 vcc_lo, 0, v5
	v_readfirstlane_b32 s1, v5
	s_cbranch_vccz .LBB12_14
; %bb.12:
	v_mov_b32_e32 v5, 1.0
	s_mov_b32 s15, 0
	s_and_b32 vcc_lo, exec_lo, s11
	global_store_b32 v4, v4, s[8:9]
	ds_store_b32 v4, v5
	s_cbranch_vccz .LBB12_15
; %bb.13:
	s_wait_xcnt 0x0
	v_mov_b32_e32 v4, 0
	s_mov_b32 s13, -1
	global_load_b32 v4, v4, s[6:7]
	s_and_b32 vcc_lo, exec_lo, s15
	s_cbranch_vccnz .LBB12_16
	s_branch .LBB12_17
.LBB12_14:
	s_mov_b32 s15, -1
.LBB12_15:
	s_mov_b32 s13, 0
                                        ; implicit-def: $vgpr4
	s_and_b32 vcc_lo, exec_lo, s15
	s_cbranch_vccz .LBB12_17
.LBB12_16:
	v_mov_b32_e32 v5, 0
	global_load_b32 v6, v5, s[6:7]
	s_wait_loadcnt 0x0
	v_readfirstlane_b32 s12, v6
	v_cmp_le_f32_e32 vcc_lo, 0, v6
	s_fmac_f32 s1, s12, s12
	s_delay_alu instid0(SALU_CYCLE_3) | instskip(SKIP_1) | instid1(SALU_CYCLE_2)
	s_mul_f32 s12, s1, 0x4f800000
	s_cmp_lt_f32 s1, 0xf800000
	s_cselect_b32 s12, s12, s1
	s_delay_alu instid0(SALU_CYCLE_1) | instskip(SKIP_1) | instid1(TRANS32_DEP_1)
	v_s_sqrt_f32 s13, s12
	s_mov_b32 s16, s12
	s_add_co_i32 s15, s13, -1
	s_delay_alu instid0(SALU_CYCLE_1) | instskip(NEXT) | instid1(SALU_CYCLE_1)
	s_xor_b32 s17, s15, 0x80000000
	s_fmac_f32 s16, s17, s13
	s_mov_b32 s17, s12
	s_delay_alu instid0(SALU_CYCLE_2) | instskip(SKIP_2) | instid1(SALU_CYCLE_1)
	s_cmp_le_f32 s16, 0
	s_cselect_b32 s15, s15, s13
	s_add_co_i32 s16, s13, 1
	s_xor_b32 s24, s16, 0x80000000
	s_delay_alu instid0(SALU_CYCLE_1) | instskip(SKIP_1) | instid1(SALU_CYCLE_2)
	s_fmac_f32 s17, s24, s13
	v_cmp_class_f32_e64 s13, s12, 0x260
	s_cmp_gt_f32 s17, 0
	s_cselect_b32 s15, s16, s15
	s_cmp_lt_f32 s1, 0xf800000
	s_mul_f32 s1, s15, 0x37800000
	s_delay_alu instid0(SALU_CYCLE_3)
	s_cselect_b32 s1, s1, s15
	s_and_b32 s13, s13, exec_lo
	s_cselect_b32 s1, s12, s1
	s_mov_b32 s13, s11
	s_xor_b32 s12, s1, 0x80000000
	s_wait_xcnt 0x1
	v_mov_b32_e32 v4, s12
	s_mov_b32 s12, s10
	s_delay_alu instid0(VALU_DEP_1) | instskip(NEXT) | instid1(VALU_DEP_1)
	v_cndmask_b32_e32 v4, s1, v4, vcc_lo
	v_sub_f32_e32 v7, v6, v4
	s_delay_alu instid0(VALU_DEP_1) | instskip(NEXT) | instid1(VALU_DEP_1)
	v_div_scale_f32 v8, null, v7, v7, 1.0
	v_rcp_f32_e32 v10, v8
	v_nop
	v_xor_b32_e32 v8, 0x80000000, v8
	s_delay_alu instid0(TRANS32_DEP_1) | instid1(VALU_DEP_1)
	v_fma_f32 v12, v8, v10, 1.0
	s_delay_alu instid0(VALU_DEP_1) | instskip(SKIP_2) | instid1(VALU_DEP_2)
	v_fmac_f32_e32 v10, v12, v10
	v_sub_f32_e32 v6, v4, v6
	v_div_scale_f32 v14, vcc_lo, 1.0, v7, 1.0
	v_div_scale_f32 v9, null, v4, v4, v6
	v_div_scale_f32 v12, s1, v6, v4, v6
	s_delay_alu instid0(VALU_DEP_2)
	v_rcp_f32_e32 v11, v9
	v_nop
	v_xor_b32_e32 v9, 0x80000000, v9
	s_delay_alu instid0(TRANS32_DEP_1) | instid1(VALU_DEP_1)
	v_fma_f32 v13, v9, v11, 1.0
	s_delay_alu instid0(VALU_DEP_1) | instskip(NEXT) | instid1(VALU_DEP_1)
	v_dual_fmac_f32 v11, v13, v11 :: v_dual_mul_f32 v13, v14, v10
	v_mul_f32_e32 v15, v12, v11
	s_delay_alu instid0(VALU_DEP_1) | instskip(NEXT) | instid1(VALU_DEP_1)
	v_dual_fma_f32 v16, v8, v13, v14 :: v_dual_fma_f32 v17, v9, v15, v12
	v_dual_fmac_f32 v13, v16, v10 :: v_dual_fmac_f32 v15, v17, v11
	s_delay_alu instid0(VALU_DEP_1) | instskip(NEXT) | instid1(VALU_DEP_1)
	v_dual_fmac_f32 v14, v8, v13 :: v_dual_fmac_f32 v12, v9, v15
	v_div_fmas_f32 v8, v14, v10, v13
	s_mov_b32 vcc_lo, s1
	s_delay_alu instid0(VALU_DEP_2) | instskip(NEXT) | instid1(VALU_DEP_2)
	v_div_fmas_f32 v9, v12, v11, v15
	v_div_fixup_f32 v7, v8, v7, 1.0
	s_delay_alu instid0(VALU_DEP_2)
	v_div_fixup_f32 v6, v9, v4, v6
	ds_store_b32 v5, v7
	global_store_b32 v5, v6, s[8:9]
.LBB12_17:
	s_and_not1_b32 vcc_lo, exec_lo, s13
	s_cbranch_vccz .LBB12_24
; %bb.18:
	s_and_not1_b32 vcc_lo, exec_lo, s12
	s_cbranch_vccnz .LBB12_20
.LBB12_19:
	s_wait_xcnt 0x0
	v_mov_b32_e32 v5, 0
	s_wait_loadcnt 0x0
	global_store_b32 v5, v4, s[6:7]
.LBB12_20:
	s_wait_xcnt 0x0
	s_or_b32 exec_lo, exec_lo, s14
	s_wait_storecnt 0x0
	s_wait_loadcnt_dscnt 0x0
	s_barrier_signal -1
	s_barrier_wait -1
	s_and_saveexec_b32 s1, s0
	s_cbranch_execz .LBB12_23
; %bb.21:
	v_mov_b32_e32 v4, 0
	s_lshl_b64 s[0:1], s[20:21], 2
	s_lshl_b64 s[4:5], s[4:5], 2
	s_add_nc_u64 s[0:1], s[18:19], s[0:1]
	s_delay_alu instid0(SALU_CYCLE_1)
	s_add_nc_u64 s[0:1], s[0:1], s[4:5]
	ds_load_b32 v4, v4
	v_lshl_add_u64 v[2:3], v[2:3], 2, s[0:1]
	s_lshl_b64 s[0:1], s[22:23], 10
	s_mov_b32 s4, 0
.LBB12_22:                              ; =>This Inner Loop Header: Depth=1
	global_load_b32 v5, v[2:3], off
	v_add_nc_u64_e32 v[0:1], 0x100, v[0:1]
	s_delay_alu instid0(VALU_DEP_1)
	v_cmp_le_i64_e32 vcc_lo, s[2:3], v[0:1]
	s_or_b32 s4, vcc_lo, s4
	s_wait_loadcnt_dscnt 0x0
	v_mul_f32_e32 v5, v4, v5
	global_store_b32 v[2:3], v5, off
	s_wait_xcnt 0x0
	v_add_nc_u64_e32 v[2:3], s[0:1], v[2:3]
	s_and_not1_b32 exec_lo, exec_lo, s4
	s_cbranch_execnz .LBB12_22
.LBB12_23:
	s_endpgm
.LBB12_24:
	s_wait_xcnt 0x0
	v_mov_b32_e32 v5, 0
	s_wait_loadcnt 0x0
	global_store_b32 v5, v4, s[28:29]
	s_wait_xcnt 0x0
	v_mov_b32_e32 v4, 1.0
	s_branch .LBB12_19
	.section	.rodata,"a",@progbits
	.p2align	6, 0x0
	.amdhsa_kernel _ZN9rocsolver6v33100L18larfg_kernel_smallILi256EflfPfEEvT1_T3_llPT2_llS4_lS3_lPT0_l
		.amdhsa_group_segment_fixed_size 32
		.amdhsa_private_segment_fixed_size 0
		.amdhsa_kernarg_size 104
		.amdhsa_user_sgpr_count 2
		.amdhsa_user_sgpr_dispatch_ptr 0
		.amdhsa_user_sgpr_queue_ptr 0
		.amdhsa_user_sgpr_kernarg_segment_ptr 1
		.amdhsa_user_sgpr_dispatch_id 0
		.amdhsa_user_sgpr_kernarg_preload_length 0
		.amdhsa_user_sgpr_kernarg_preload_offset 0
		.amdhsa_user_sgpr_private_segment_size 0
		.amdhsa_wavefront_size32 1
		.amdhsa_uses_dynamic_stack 0
		.amdhsa_enable_private_segment 0
		.amdhsa_system_sgpr_workgroup_id_x 1
		.amdhsa_system_sgpr_workgroup_id_y 0
		.amdhsa_system_sgpr_workgroup_id_z 1
		.amdhsa_system_sgpr_workgroup_info 0
		.amdhsa_system_vgpr_workitem_id 0
		.amdhsa_next_free_vgpr 18
		.amdhsa_next_free_sgpr 32
		.amdhsa_named_barrier_count 0
		.amdhsa_reserve_vcc 1
		.amdhsa_float_round_mode_32 0
		.amdhsa_float_round_mode_16_64 0
		.amdhsa_float_denorm_mode_32 3
		.amdhsa_float_denorm_mode_16_64 3
		.amdhsa_fp16_overflow 0
		.amdhsa_memory_ordered 1
		.amdhsa_forward_progress 1
		.amdhsa_inst_pref_size 12
		.amdhsa_round_robin_scheduling 0
		.amdhsa_exception_fp_ieee_invalid_op 0
		.amdhsa_exception_fp_denorm_src 0
		.amdhsa_exception_fp_ieee_div_zero 0
		.amdhsa_exception_fp_ieee_overflow 0
		.amdhsa_exception_fp_ieee_underflow 0
		.amdhsa_exception_fp_ieee_inexact 0
		.amdhsa_exception_int_div_zero 0
	.end_amdhsa_kernel
	.section	.text._ZN9rocsolver6v33100L18larfg_kernel_smallILi256EflfPfEEvT1_T3_llPT2_llS4_lS3_lPT0_l,"axG",@progbits,_ZN9rocsolver6v33100L18larfg_kernel_smallILi256EflfPfEEvT1_T3_llPT2_llS4_lS3_lPT0_l,comdat
.Lfunc_end12:
	.size	_ZN9rocsolver6v33100L18larfg_kernel_smallILi256EflfPfEEvT1_T3_llPT2_llS4_lS3_lPT0_l, .Lfunc_end12-_ZN9rocsolver6v33100L18larfg_kernel_smallILi256EflfPfEEvT1_T3_llPT2_llS4_lS3_lPT0_l
                                        ; -- End function
	.set _ZN9rocsolver6v33100L18larfg_kernel_smallILi256EflfPfEEvT1_T3_llPT2_llS4_lS3_lPT0_l.num_vgpr, 18
	.set _ZN9rocsolver6v33100L18larfg_kernel_smallILi256EflfPfEEvT1_T3_llPT2_llS4_lS3_lPT0_l.num_agpr, 0
	.set _ZN9rocsolver6v33100L18larfg_kernel_smallILi256EflfPfEEvT1_T3_llPT2_llS4_lS3_lPT0_l.numbered_sgpr, 32
	.set _ZN9rocsolver6v33100L18larfg_kernel_smallILi256EflfPfEEvT1_T3_llPT2_llS4_lS3_lPT0_l.num_named_barrier, 0
	.set _ZN9rocsolver6v33100L18larfg_kernel_smallILi256EflfPfEEvT1_T3_llPT2_llS4_lS3_lPT0_l.private_seg_size, 0
	.set _ZN9rocsolver6v33100L18larfg_kernel_smallILi256EflfPfEEvT1_T3_llPT2_llS4_lS3_lPT0_l.uses_vcc, 1
	.set _ZN9rocsolver6v33100L18larfg_kernel_smallILi256EflfPfEEvT1_T3_llPT2_llS4_lS3_lPT0_l.uses_flat_scratch, 0
	.set _ZN9rocsolver6v33100L18larfg_kernel_smallILi256EflfPfEEvT1_T3_llPT2_llS4_lS3_lPT0_l.has_dyn_sized_stack, 0
	.set _ZN9rocsolver6v33100L18larfg_kernel_smallILi256EflfPfEEvT1_T3_llPT2_llS4_lS3_lPT0_l.has_recursion, 0
	.set _ZN9rocsolver6v33100L18larfg_kernel_smallILi256EflfPfEEvT1_T3_llPT2_llS4_lS3_lPT0_l.has_indirect_call, 0
	.section	.AMDGPU.csdata,"",@progbits
; Kernel info:
; codeLenInByte = 1492
; TotalNumSgprs: 34
; NumVgprs: 18
; ScratchSize: 0
; MemoryBound: 0
; FloatMode: 240
; IeeeMode: 1
; LDSByteSize: 32 bytes/workgroup (compile time only)
; SGPRBlocks: 0
; VGPRBlocks: 1
; NumSGPRsForWavesPerEU: 34
; NumVGPRsForWavesPerEU: 18
; NamedBarCnt: 0
; Occupancy: 16
; WaveLimiterHint : 0
; COMPUTE_PGM_RSRC2:SCRATCH_EN: 0
; COMPUTE_PGM_RSRC2:USER_SGPR: 2
; COMPUTE_PGM_RSRC2:TRAP_HANDLER: 0
; COMPUTE_PGM_RSRC2:TGID_X_EN: 1
; COMPUTE_PGM_RSRC2:TGID_Y_EN: 0
; COMPUTE_PGM_RSRC2:TGID_Z_EN: 1
; COMPUTE_PGM_RSRC2:TIDIG_COMP_CNT: 0
	.section	.text._ZN9rocsolver6v33100L18larfg_kernel_smallILi512EflfPfEEvT1_T3_llPT2_llS4_lS3_lPT0_l,"axG",@progbits,_ZN9rocsolver6v33100L18larfg_kernel_smallILi512EflfPfEEvT1_T3_llPT2_llS4_lS3_lPT0_l,comdat
	.globl	_ZN9rocsolver6v33100L18larfg_kernel_smallILi512EflfPfEEvT1_T3_llPT2_llS4_lS3_lPT0_l ; -- Begin function _ZN9rocsolver6v33100L18larfg_kernel_smallILi512EflfPfEEvT1_T3_llPT2_llS4_lS3_lPT0_l
	.p2align	8
	.type	_ZN9rocsolver6v33100L18larfg_kernel_smallILi512EflfPfEEvT1_T3_llPT2_llS4_lS3_lPT0_l,@function
_ZN9rocsolver6v33100L18larfg_kernel_smallILi512EflfPfEEvT1_T3_llPT2_llS4_lS3_lPT0_l: ; @_ZN9rocsolver6v33100L18larfg_kernel_smallILi512EflfPfEEvT1_T3_llPT2_llS4_lS3_lPT0_l
; %bb.0:
	s_load_b512 s[4:19], s[0:1], 0x0
	s_bfe_u32 s2, ttmp6, 0x40014
	s_lshr_b32 s3, ttmp7, 16
	s_add_co_i32 s2, s2, 1
	s_bfe_u32 s20, ttmp6, 0x40008
	s_mul_i32 s2, s3, s2
	s_getreg_b32 s21, hwreg(HW_REG_IB_STS2, 6, 4)
	s_add_co_i32 s20, s20, s2
	s_cmp_eq_u32 s21, 0
	s_mov_b32 s31, 0
	s_cselect_b32 s30, s3, s20
	s_mov_b64 s[28:29], 0
	s_wait_kmcnt 0x0
	s_cmp_eq_u64 s[12:13], 0
	s_cbranch_scc1 .LBB13_2
; %bb.1:
	s_mul_u64 s[2:3], s[16:17], s[30:31]
	s_delay_alu instid0(SALU_CYCLE_1) | instskip(NEXT) | instid1(SALU_CYCLE_1)
	s_lshl_b64 s[2:3], s[2:3], 2
	s_add_nc_u64 s[2:3], s[12:13], s[2:3]
	s_lshl_b64 s[12:13], s[14:15], 2
	s_delay_alu instid0(SALU_CYCLE_1)
	s_add_nc_u64 s[28:29], s[2:3], s[12:13]
.LBB13_2:
	s_load_b256 s[20:27], s[0:1], 0x40
	v_mov_b32_e32 v1, 0
	s_load_b64 s[12:13], s[0:1], 0x60
	s_add_nc_u64 s[2:3], s[4:5], -1
	s_wait_xcnt 0x0
	s_delay_alu instid0(VALU_DEP_1)
	v_cmp_gt_i64_e64 s0, s[2:3], v[0:1]
	v_mov_b32_e32 v8, v1
	s_wait_kmcnt 0x0
	v_mul_u64_e32 v[2:3], s[22:23], v[0:1]
	s_mul_u64 s[4:5], s[24:25], s[30:31]
	s_and_saveexec_b32 s1, s0
	s_cbranch_execz .LBB13_6
; %bb.3:
	s_lshl_b64 s[14:15], s[20:21], 2
	s_lshl_b64 s[16:17], s[4:5], 2
	s_add_nc_u64 s[14:15], s[18:19], s[14:15]
	v_mov_b64_e32 v[6:7], v[0:1]
	s_add_nc_u64 s[14:15], s[14:15], s[16:17]
	v_mov_b32_e32 v8, 0
	s_delay_alu instid0(VALU_DEP_3)
	v_lshl_add_u64 v[4:5], v[2:3], 2, s[14:15]
	s_lshl_b64 s[14:15], s[22:23], 11
	s_mov_b32 s16, 0
.LBB13_4:                               ; =>This Inner Loop Header: Depth=1
	global_load_b32 v9, v[4:5], off
	v_add_nc_u64_e32 v[6:7], 0x200, v[6:7]
	s_wait_xcnt 0x0
	v_add_nc_u64_e32 v[4:5], s[14:15], v[4:5]
	s_delay_alu instid0(VALU_DEP_2)
	v_cmp_le_i64_e32 vcc_lo, s[2:3], v[6:7]
	s_or_b32 s16, vcc_lo, s16
	s_wait_loadcnt 0x0
	v_fmac_f32_e32 v8, v9, v9
	s_and_not1_b32 exec_lo, exec_lo, s16
	s_cbranch_execnz .LBB13_4
; %bb.5:
	s_or_b32 exec_lo, exec_lo, s16
.LBB13_6:
	s_delay_alu instid0(SALU_CYCLE_1) | instskip(SKIP_2) | instid1(VALU_DEP_1)
	s_or_b32 exec_lo, exec_lo, s1
	v_mbcnt_lo_u32_b32 v4, -1, 0
	s_mov_b32 s1, exec_lo
	v_cmp_ne_u32_e32 vcc_lo, 31, v4
	v_add_co_ci_u32_e64 v5, null, 0, v4, vcc_lo
	v_cmp_gt_u32_e32 vcc_lo, 30, v4
	s_delay_alu instid0(VALU_DEP_2)
	v_lshlrev_b32_e32 v5, 2, v5
	v_cndmask_b32_e64 v6, 0, 2, vcc_lo
	v_cmp_gt_u32_e32 vcc_lo, 28, v4
	ds_bpermute_b32 v5, v5, v8
	v_add_lshl_u32 v6, v6, v4, 2
	v_cndmask_b32_e64 v7, 0, 4, vcc_lo
	v_cmp_gt_u32_e32 vcc_lo, 24, v4
	s_delay_alu instid0(VALU_DEP_2)
	v_add_lshl_u32 v7, v7, v4, 2
	s_wait_dscnt 0x0
	v_add_f32_e32 v5, v8, v5
	ds_bpermute_b32 v6, v6, v5
	s_wait_dscnt 0x0
	v_add_f32_e32 v5, v5, v6
	ds_bpermute_b32 v6, v7, v5
	v_cndmask_b32_e64 v7, 0, 8, vcc_lo
	s_delay_alu instid0(VALU_DEP_1)
	v_add_lshl_u32 v7, v7, v4, 2
	v_lshl_or_b32 v4, v4, 2, 64
	s_wait_dscnt 0x0
	v_add_f32_e32 v5, v5, v6
	ds_bpermute_b32 v6, v7, v5
	s_wait_dscnt 0x0
	v_dual_add_f32 v5, v5, v6 :: v_dual_bitop2_b32 v6, 31, v0 bitop3:0x40
	ds_bpermute_b32 v4, v4, v5
	s_wait_dscnt 0x0
	v_add_f32_e32 v4, v5, v4
	v_cmpx_eq_u32_e32 0, v6
; %bb.7:
	v_lshrrev_b32_e32 v5, 3, v0
	ds_store_b32 v5, v4
; %bb.8:
	s_or_b32 exec_lo, exec_lo, s1
	v_cmp_eq_u32_e32 vcc_lo, 0, v0
	s_wait_dscnt 0x0
	s_barrier_signal -1
	s_barrier_wait -1
	s_and_saveexec_b32 s1, vcc_lo
	s_cbranch_execz .LBB13_10
; %bb.9:
	v_mov_b32_e32 v14, 0
	ds_load_2addr_b32 v[6:7], v14 offset0:1 offset1:2
	ds_load_2addr_b32 v[8:9], v14 offset0:3 offset1:4
	;; [unrolled: 1-line block ×4, first 2 shown]
	s_wait_dscnt 0x3
	v_add_f32_e32 v4, v4, v6
	s_delay_alu instid0(VALU_DEP_1) | instskip(SKIP_1) | instid1(VALU_DEP_1)
	v_add_f32_e32 v4, v4, v7
	s_wait_dscnt 0x2
	v_add_f32_e32 v4, v4, v8
	s_delay_alu instid0(VALU_DEP_1) | instskip(SKIP_1) | instid1(VALU_DEP_1)
	v_add_f32_e32 v4, v4, v9
	s_wait_dscnt 0x1
	v_add_f32_e32 v6, v4, v10
	ds_load_2addr_b32 v[4:5], v14 offset0:9 offset1:10
	v_add_f32_e32 v6, v6, v11
	s_wait_dscnt 0x1
	s_delay_alu instid0(VALU_DEP_1)
	v_add_f32_e32 v8, v6, v12
	ds_load_2addr_b32 v[6:7], v14 offset0:11 offset1:12
	v_add_f32_e32 v10, v8, v13
	ds_load_2addr_b32 v[8:9], v14 offset0:13 offset1:14
	ds_load_b32 v11, v14 offset:60
	s_wait_dscnt 0x3
	v_add_f32_e32 v4, v10, v4
	s_delay_alu instid0(VALU_DEP_1) | instskip(SKIP_1) | instid1(VALU_DEP_1)
	v_add_f32_e32 v4, v4, v5
	s_wait_dscnt 0x2
	v_add_f32_e32 v4, v4, v6
	s_delay_alu instid0(VALU_DEP_1) | instskip(SKIP_1) | instid1(VALU_DEP_1)
	v_add_f32_e32 v4, v4, v7
	;; [unrolled: 4-line block ×3, first 2 shown]
	s_wait_dscnt 0x0
	v_add_f32_e32 v4, v4, v11
	ds_store_b32 v14, v4
.LBB13_10:
	s_or_b32 exec_lo, exec_lo, s1
	s_wait_dscnt 0x0
	s_barrier_signal -1
	s_barrier_wait -1
	s_and_saveexec_b32 s14, vcc_lo
	s_cbranch_execz .LBB13_20
; %bb.11:
	v_mov_b32_e32 v4, 0
	s_mul_u64 s[10:11], s[10:11], s[30:31]
	s_lshl_b64 s[8:9], s[8:9], 2
	s_lshl_b64 s[10:11], s[10:11], 2
	s_delay_alu instid0(SALU_CYCLE_1)
	s_add_nc_u64 s[6:7], s[6:7], s[10:11]
	ds_load_b32 v5, v4
	s_mul_u64 s[10:11], s[12:13], s[30:31]
	s_add_nc_u64 s[6:7], s[6:7], s[8:9]
	s_lshl_b64 s[10:11], s[10:11], 2
	s_cmp_eq_u64 s[28:29], 0
	s_add_nc_u64 s[8:9], s[26:27], s[10:11]
	s_cselect_b32 s10, -1, 0
	s_cmp_lg_u64 s[28:29], 0
	s_mov_b32 s12, 0
	s_cselect_b32 s11, -1, 0
	s_wait_dscnt 0x0
	v_cmp_nlt_f32_e32 vcc_lo, 0, v5
	v_readfirstlane_b32 s1, v5
	s_cbranch_vccz .LBB13_14
; %bb.12:
	v_mov_b32_e32 v5, 1.0
	s_mov_b32 s15, 0
	s_and_b32 vcc_lo, exec_lo, s11
	global_store_b32 v4, v4, s[8:9]
	ds_store_b32 v4, v5
	s_cbranch_vccz .LBB13_15
; %bb.13:
	s_wait_xcnt 0x0
	v_mov_b32_e32 v4, 0
	s_mov_b32 s13, -1
	global_load_b32 v4, v4, s[6:7]
	s_and_b32 vcc_lo, exec_lo, s15
	s_cbranch_vccnz .LBB13_16
	s_branch .LBB13_17
.LBB13_14:
	s_mov_b32 s15, -1
.LBB13_15:
	s_mov_b32 s13, 0
                                        ; implicit-def: $vgpr4
	s_and_b32 vcc_lo, exec_lo, s15
	s_cbranch_vccz .LBB13_17
.LBB13_16:
	v_mov_b32_e32 v5, 0
	global_load_b32 v6, v5, s[6:7]
	s_wait_loadcnt 0x0
	v_readfirstlane_b32 s12, v6
	v_cmp_le_f32_e32 vcc_lo, 0, v6
	s_fmac_f32 s1, s12, s12
	s_delay_alu instid0(SALU_CYCLE_3) | instskip(SKIP_1) | instid1(SALU_CYCLE_2)
	s_mul_f32 s12, s1, 0x4f800000
	s_cmp_lt_f32 s1, 0xf800000
	s_cselect_b32 s12, s12, s1
	s_delay_alu instid0(SALU_CYCLE_1) | instskip(SKIP_1) | instid1(TRANS32_DEP_1)
	v_s_sqrt_f32 s13, s12
	s_mov_b32 s16, s12
	s_add_co_i32 s15, s13, -1
	s_delay_alu instid0(SALU_CYCLE_1) | instskip(NEXT) | instid1(SALU_CYCLE_1)
	s_xor_b32 s17, s15, 0x80000000
	s_fmac_f32 s16, s17, s13
	s_mov_b32 s17, s12
	s_delay_alu instid0(SALU_CYCLE_2) | instskip(SKIP_2) | instid1(SALU_CYCLE_1)
	s_cmp_le_f32 s16, 0
	s_cselect_b32 s15, s15, s13
	s_add_co_i32 s16, s13, 1
	s_xor_b32 s24, s16, 0x80000000
	s_delay_alu instid0(SALU_CYCLE_1) | instskip(SKIP_1) | instid1(SALU_CYCLE_2)
	s_fmac_f32 s17, s24, s13
	v_cmp_class_f32_e64 s13, s12, 0x260
	s_cmp_gt_f32 s17, 0
	s_cselect_b32 s15, s16, s15
	s_cmp_lt_f32 s1, 0xf800000
	s_mul_f32 s1, s15, 0x37800000
	s_delay_alu instid0(SALU_CYCLE_3)
	s_cselect_b32 s1, s1, s15
	s_and_b32 s13, s13, exec_lo
	s_cselect_b32 s1, s12, s1
	s_mov_b32 s13, s11
	s_xor_b32 s12, s1, 0x80000000
	s_wait_xcnt 0x1
	v_mov_b32_e32 v4, s12
	s_mov_b32 s12, s10
	s_delay_alu instid0(VALU_DEP_1) | instskip(NEXT) | instid1(VALU_DEP_1)
	v_cndmask_b32_e32 v4, s1, v4, vcc_lo
	v_sub_f32_e32 v7, v6, v4
	s_delay_alu instid0(VALU_DEP_1) | instskip(NEXT) | instid1(VALU_DEP_1)
	v_div_scale_f32 v8, null, v7, v7, 1.0
	v_rcp_f32_e32 v10, v8
	v_nop
	v_xor_b32_e32 v8, 0x80000000, v8
	s_delay_alu instid0(TRANS32_DEP_1) | instid1(VALU_DEP_1)
	v_fma_f32 v12, v8, v10, 1.0
	s_delay_alu instid0(VALU_DEP_1) | instskip(SKIP_2) | instid1(VALU_DEP_2)
	v_fmac_f32_e32 v10, v12, v10
	v_sub_f32_e32 v6, v4, v6
	v_div_scale_f32 v14, vcc_lo, 1.0, v7, 1.0
	v_div_scale_f32 v9, null, v4, v4, v6
	v_div_scale_f32 v12, s1, v6, v4, v6
	s_delay_alu instid0(VALU_DEP_2)
	v_rcp_f32_e32 v11, v9
	v_nop
	v_xor_b32_e32 v9, 0x80000000, v9
	s_delay_alu instid0(TRANS32_DEP_1) | instid1(VALU_DEP_1)
	v_fma_f32 v13, v9, v11, 1.0
	s_delay_alu instid0(VALU_DEP_1) | instskip(NEXT) | instid1(VALU_DEP_1)
	v_dual_fmac_f32 v11, v13, v11 :: v_dual_mul_f32 v13, v14, v10
	v_mul_f32_e32 v15, v12, v11
	s_delay_alu instid0(VALU_DEP_1) | instskip(NEXT) | instid1(VALU_DEP_1)
	v_dual_fma_f32 v16, v8, v13, v14 :: v_dual_fma_f32 v17, v9, v15, v12
	v_dual_fmac_f32 v13, v16, v10 :: v_dual_fmac_f32 v15, v17, v11
	s_delay_alu instid0(VALU_DEP_1) | instskip(NEXT) | instid1(VALU_DEP_1)
	v_dual_fmac_f32 v14, v8, v13 :: v_dual_fmac_f32 v12, v9, v15
	v_div_fmas_f32 v8, v14, v10, v13
	s_mov_b32 vcc_lo, s1
	s_delay_alu instid0(VALU_DEP_2) | instskip(NEXT) | instid1(VALU_DEP_2)
	v_div_fmas_f32 v9, v12, v11, v15
	v_div_fixup_f32 v7, v8, v7, 1.0
	s_delay_alu instid0(VALU_DEP_2)
	v_div_fixup_f32 v6, v9, v4, v6
	ds_store_b32 v5, v7
	global_store_b32 v5, v6, s[8:9]
.LBB13_17:
	s_and_not1_b32 vcc_lo, exec_lo, s13
	s_cbranch_vccz .LBB13_24
; %bb.18:
	s_and_not1_b32 vcc_lo, exec_lo, s12
	s_cbranch_vccnz .LBB13_20
.LBB13_19:
	s_wait_xcnt 0x0
	v_mov_b32_e32 v5, 0
	s_wait_loadcnt 0x0
	global_store_b32 v5, v4, s[6:7]
.LBB13_20:
	s_wait_xcnt 0x0
	s_or_b32 exec_lo, exec_lo, s14
	s_wait_storecnt 0x0
	s_wait_loadcnt_dscnt 0x0
	s_barrier_signal -1
	s_barrier_wait -1
	s_and_saveexec_b32 s1, s0
	s_cbranch_execz .LBB13_23
; %bb.21:
	v_mov_b32_e32 v4, 0
	s_lshl_b64 s[0:1], s[20:21], 2
	s_lshl_b64 s[4:5], s[4:5], 2
	s_add_nc_u64 s[0:1], s[18:19], s[0:1]
	s_delay_alu instid0(SALU_CYCLE_1)
	s_add_nc_u64 s[0:1], s[0:1], s[4:5]
	ds_load_b32 v4, v4
	v_lshl_add_u64 v[2:3], v[2:3], 2, s[0:1]
	s_lshl_b64 s[0:1], s[22:23], 11
	s_mov_b32 s4, 0
.LBB13_22:                              ; =>This Inner Loop Header: Depth=1
	global_load_b32 v5, v[2:3], off
	v_add_nc_u64_e32 v[0:1], 0x200, v[0:1]
	s_delay_alu instid0(VALU_DEP_1)
	v_cmp_le_i64_e32 vcc_lo, s[2:3], v[0:1]
	s_or_b32 s4, vcc_lo, s4
	s_wait_loadcnt_dscnt 0x0
	v_mul_f32_e32 v5, v4, v5
	global_store_b32 v[2:3], v5, off
	s_wait_xcnt 0x0
	v_add_nc_u64_e32 v[2:3], s[0:1], v[2:3]
	s_and_not1_b32 exec_lo, exec_lo, s4
	s_cbranch_execnz .LBB13_22
.LBB13_23:
	s_endpgm
.LBB13_24:
	s_wait_xcnt 0x0
	v_mov_b32_e32 v5, 0
	s_wait_loadcnt 0x0
	global_store_b32 v5, v4, s[28:29]
	s_wait_xcnt 0x0
	v_mov_b32_e32 v4, 1.0
	s_branch .LBB13_19
	.section	.rodata,"a",@progbits
	.p2align	6, 0x0
	.amdhsa_kernel _ZN9rocsolver6v33100L18larfg_kernel_smallILi512EflfPfEEvT1_T3_llPT2_llS4_lS3_lPT0_l
		.amdhsa_group_segment_fixed_size 64
		.amdhsa_private_segment_fixed_size 0
		.amdhsa_kernarg_size 104
		.amdhsa_user_sgpr_count 2
		.amdhsa_user_sgpr_dispatch_ptr 0
		.amdhsa_user_sgpr_queue_ptr 0
		.amdhsa_user_sgpr_kernarg_segment_ptr 1
		.amdhsa_user_sgpr_dispatch_id 0
		.amdhsa_user_sgpr_kernarg_preload_length 0
		.amdhsa_user_sgpr_kernarg_preload_offset 0
		.amdhsa_user_sgpr_private_segment_size 0
		.amdhsa_wavefront_size32 1
		.amdhsa_uses_dynamic_stack 0
		.amdhsa_enable_private_segment 0
		.amdhsa_system_sgpr_workgroup_id_x 1
		.amdhsa_system_sgpr_workgroup_id_y 0
		.amdhsa_system_sgpr_workgroup_id_z 1
		.amdhsa_system_sgpr_workgroup_info 0
		.amdhsa_system_vgpr_workitem_id 0
		.amdhsa_next_free_vgpr 18
		.amdhsa_next_free_sgpr 32
		.amdhsa_named_barrier_count 0
		.amdhsa_reserve_vcc 1
		.amdhsa_float_round_mode_32 0
		.amdhsa_float_round_mode_16_64 0
		.amdhsa_float_denorm_mode_32 3
		.amdhsa_float_denorm_mode_16_64 3
		.amdhsa_fp16_overflow 0
		.amdhsa_memory_ordered 1
		.amdhsa_forward_progress 1
		.amdhsa_inst_pref_size 13
		.amdhsa_round_robin_scheduling 0
		.amdhsa_exception_fp_ieee_invalid_op 0
		.amdhsa_exception_fp_denorm_src 0
		.amdhsa_exception_fp_ieee_div_zero 0
		.amdhsa_exception_fp_ieee_overflow 0
		.amdhsa_exception_fp_ieee_underflow 0
		.amdhsa_exception_fp_ieee_inexact 0
		.amdhsa_exception_int_div_zero 0
	.end_amdhsa_kernel
	.section	.text._ZN9rocsolver6v33100L18larfg_kernel_smallILi512EflfPfEEvT1_T3_llPT2_llS4_lS3_lPT0_l,"axG",@progbits,_ZN9rocsolver6v33100L18larfg_kernel_smallILi512EflfPfEEvT1_T3_llPT2_llS4_lS3_lPT0_l,comdat
.Lfunc_end13:
	.size	_ZN9rocsolver6v33100L18larfg_kernel_smallILi512EflfPfEEvT1_T3_llPT2_llS4_lS3_lPT0_l, .Lfunc_end13-_ZN9rocsolver6v33100L18larfg_kernel_smallILi512EflfPfEEvT1_T3_llPT2_llS4_lS3_lPT0_l
                                        ; -- End function
	.set _ZN9rocsolver6v33100L18larfg_kernel_smallILi512EflfPfEEvT1_T3_llPT2_llS4_lS3_lPT0_l.num_vgpr, 18
	.set _ZN9rocsolver6v33100L18larfg_kernel_smallILi512EflfPfEEvT1_T3_llPT2_llS4_lS3_lPT0_l.num_agpr, 0
	.set _ZN9rocsolver6v33100L18larfg_kernel_smallILi512EflfPfEEvT1_T3_llPT2_llS4_lS3_lPT0_l.numbered_sgpr, 32
	.set _ZN9rocsolver6v33100L18larfg_kernel_smallILi512EflfPfEEvT1_T3_llPT2_llS4_lS3_lPT0_l.num_named_barrier, 0
	.set _ZN9rocsolver6v33100L18larfg_kernel_smallILi512EflfPfEEvT1_T3_llPT2_llS4_lS3_lPT0_l.private_seg_size, 0
	.set _ZN9rocsolver6v33100L18larfg_kernel_smallILi512EflfPfEEvT1_T3_llPT2_llS4_lS3_lPT0_l.uses_vcc, 1
	.set _ZN9rocsolver6v33100L18larfg_kernel_smallILi512EflfPfEEvT1_T3_llPT2_llS4_lS3_lPT0_l.uses_flat_scratch, 0
	.set _ZN9rocsolver6v33100L18larfg_kernel_smallILi512EflfPfEEvT1_T3_llPT2_llS4_lS3_lPT0_l.has_dyn_sized_stack, 0
	.set _ZN9rocsolver6v33100L18larfg_kernel_smallILi512EflfPfEEvT1_T3_llPT2_llS4_lS3_lPT0_l.has_recursion, 0
	.set _ZN9rocsolver6v33100L18larfg_kernel_smallILi512EflfPfEEvT1_T3_llPT2_llS4_lS3_lPT0_l.has_indirect_call, 0
	.section	.AMDGPU.csdata,"",@progbits
; Kernel info:
; codeLenInByte = 1584
; TotalNumSgprs: 34
; NumVgprs: 18
; ScratchSize: 0
; MemoryBound: 0
; FloatMode: 240
; IeeeMode: 1
; LDSByteSize: 64 bytes/workgroup (compile time only)
; SGPRBlocks: 0
; VGPRBlocks: 1
; NumSGPRsForWavesPerEU: 34
; NumVGPRsForWavesPerEU: 18
; NamedBarCnt: 0
; Occupancy: 16
; WaveLimiterHint : 0
; COMPUTE_PGM_RSRC2:SCRATCH_EN: 0
; COMPUTE_PGM_RSRC2:USER_SGPR: 2
; COMPUTE_PGM_RSRC2:TRAP_HANDLER: 0
; COMPUTE_PGM_RSRC2:TGID_X_EN: 1
; COMPUTE_PGM_RSRC2:TGID_Y_EN: 0
; COMPUTE_PGM_RSRC2:TGID_Z_EN: 1
; COMPUTE_PGM_RSRC2:TIDIG_COMP_CNT: 0
	.section	.text._ZN9rocsolver6v33100L18larfg_kernel_smallILi1024EflfPfEEvT1_T3_llPT2_llS4_lS3_lPT0_l,"axG",@progbits,_ZN9rocsolver6v33100L18larfg_kernel_smallILi1024EflfPfEEvT1_T3_llPT2_llS4_lS3_lPT0_l,comdat
	.globl	_ZN9rocsolver6v33100L18larfg_kernel_smallILi1024EflfPfEEvT1_T3_llPT2_llS4_lS3_lPT0_l ; -- Begin function _ZN9rocsolver6v33100L18larfg_kernel_smallILi1024EflfPfEEvT1_T3_llPT2_llS4_lS3_lPT0_l
	.p2align	8
	.type	_ZN9rocsolver6v33100L18larfg_kernel_smallILi1024EflfPfEEvT1_T3_llPT2_llS4_lS3_lPT0_l,@function
_ZN9rocsolver6v33100L18larfg_kernel_smallILi1024EflfPfEEvT1_T3_llPT2_llS4_lS3_lPT0_l: ; @_ZN9rocsolver6v33100L18larfg_kernel_smallILi1024EflfPfEEvT1_T3_llPT2_llS4_lS3_lPT0_l
; %bb.0:
	s_load_b512 s[4:19], s[0:1], 0x0
	s_bfe_u32 s2, ttmp6, 0x40014
	s_lshr_b32 s3, ttmp7, 16
	s_add_co_i32 s2, s2, 1
	s_bfe_u32 s20, ttmp6, 0x40008
	s_mul_i32 s2, s3, s2
	s_getreg_b32 s21, hwreg(HW_REG_IB_STS2, 6, 4)
	s_add_co_i32 s20, s20, s2
	s_cmp_eq_u32 s21, 0
	s_mov_b32 s31, 0
	s_cselect_b32 s30, s3, s20
	s_mov_b64 s[28:29], 0
	s_wait_kmcnt 0x0
	s_cmp_eq_u64 s[12:13], 0
	s_cbranch_scc1 .LBB14_2
; %bb.1:
	s_mul_u64 s[2:3], s[16:17], s[30:31]
	s_delay_alu instid0(SALU_CYCLE_1) | instskip(NEXT) | instid1(SALU_CYCLE_1)
	s_lshl_b64 s[2:3], s[2:3], 2
	s_add_nc_u64 s[2:3], s[12:13], s[2:3]
	s_lshl_b64 s[12:13], s[14:15], 2
	s_delay_alu instid0(SALU_CYCLE_1)
	s_add_nc_u64 s[28:29], s[2:3], s[12:13]
.LBB14_2:
	s_load_b256 s[20:27], s[0:1], 0x40
	v_mov_b32_e32 v1, 0
	s_load_b64 s[12:13], s[0:1], 0x60
	s_add_nc_u64 s[2:3], s[4:5], -1
	s_wait_xcnt 0x0
	s_delay_alu instid0(VALU_DEP_1)
	v_cmp_gt_i64_e64 s0, s[2:3], v[0:1]
	v_mov_b32_e32 v8, v1
	s_wait_kmcnt 0x0
	v_mul_u64_e32 v[2:3], s[22:23], v[0:1]
	s_mul_u64 s[4:5], s[24:25], s[30:31]
	s_and_saveexec_b32 s1, s0
	s_cbranch_execz .LBB14_6
; %bb.3:
	s_lshl_b64 s[14:15], s[20:21], 2
	s_lshl_b64 s[16:17], s[4:5], 2
	s_add_nc_u64 s[14:15], s[18:19], s[14:15]
	v_mov_b64_e32 v[6:7], v[0:1]
	s_add_nc_u64 s[14:15], s[14:15], s[16:17]
	v_mov_b32_e32 v8, 0
	s_delay_alu instid0(VALU_DEP_3)
	v_lshl_add_u64 v[4:5], v[2:3], 2, s[14:15]
	s_lshl_b64 s[14:15], s[22:23], 12
	s_mov_b32 s16, 0
.LBB14_4:                               ; =>This Inner Loop Header: Depth=1
	global_load_b32 v9, v[4:5], off
	v_add_nc_u64_e32 v[6:7], 0x400, v[6:7]
	s_wait_xcnt 0x0
	v_add_nc_u64_e32 v[4:5], s[14:15], v[4:5]
	s_delay_alu instid0(VALU_DEP_2)
	v_cmp_le_i64_e32 vcc_lo, s[2:3], v[6:7]
	s_or_b32 s16, vcc_lo, s16
	s_wait_loadcnt 0x0
	v_fmac_f32_e32 v8, v9, v9
	s_and_not1_b32 exec_lo, exec_lo, s16
	s_cbranch_execnz .LBB14_4
; %bb.5:
	s_or_b32 exec_lo, exec_lo, s16
.LBB14_6:
	s_delay_alu instid0(SALU_CYCLE_1) | instskip(SKIP_2) | instid1(VALU_DEP_1)
	s_or_b32 exec_lo, exec_lo, s1
	v_mbcnt_lo_u32_b32 v4, -1, 0
	s_mov_b32 s1, exec_lo
	v_cmp_ne_u32_e32 vcc_lo, 31, v4
	v_add_co_ci_u32_e64 v5, null, 0, v4, vcc_lo
	v_cmp_gt_u32_e32 vcc_lo, 30, v4
	s_delay_alu instid0(VALU_DEP_2)
	v_lshlrev_b32_e32 v5, 2, v5
	v_cndmask_b32_e64 v6, 0, 2, vcc_lo
	v_cmp_gt_u32_e32 vcc_lo, 28, v4
	ds_bpermute_b32 v5, v5, v8
	v_add_lshl_u32 v6, v6, v4, 2
	v_cndmask_b32_e64 v7, 0, 4, vcc_lo
	v_cmp_gt_u32_e32 vcc_lo, 24, v4
	s_delay_alu instid0(VALU_DEP_2)
	v_add_lshl_u32 v7, v7, v4, 2
	s_wait_dscnt 0x0
	v_add_f32_e32 v5, v8, v5
	ds_bpermute_b32 v6, v6, v5
	s_wait_dscnt 0x0
	v_add_f32_e32 v5, v5, v6
	ds_bpermute_b32 v6, v7, v5
	v_cndmask_b32_e64 v7, 0, 8, vcc_lo
	s_delay_alu instid0(VALU_DEP_1)
	v_add_lshl_u32 v7, v7, v4, 2
	v_lshl_or_b32 v4, v4, 2, 64
	s_wait_dscnt 0x0
	v_add_f32_e32 v5, v5, v6
	ds_bpermute_b32 v6, v7, v5
	s_wait_dscnt 0x0
	v_dual_add_f32 v5, v5, v6 :: v_dual_bitop2_b32 v6, 31, v0 bitop3:0x40
	ds_bpermute_b32 v4, v4, v5
	s_wait_dscnt 0x0
	v_add_f32_e32 v4, v5, v4
	v_cmpx_eq_u32_e32 0, v6
; %bb.7:
	v_lshrrev_b32_e32 v5, 3, v0
	ds_store_b32 v5, v4
; %bb.8:
	s_or_b32 exec_lo, exec_lo, s1
	v_cmp_eq_u32_e32 vcc_lo, 0, v0
	s_wait_dscnt 0x0
	s_barrier_signal -1
	s_barrier_wait -1
	s_and_saveexec_b32 s1, vcc_lo
	s_cbranch_execz .LBB14_10
; %bb.9:
	v_mov_b32_e32 v14, 0
	ds_load_2addr_b32 v[6:7], v14 offset0:1 offset1:2
	ds_load_2addr_b32 v[8:9], v14 offset0:3 offset1:4
	;; [unrolled: 1-line block ×4, first 2 shown]
	s_wait_dscnt 0x3
	v_add_f32_e32 v4, v4, v6
	s_delay_alu instid0(VALU_DEP_1) | instskip(SKIP_1) | instid1(VALU_DEP_1)
	v_add_f32_e32 v4, v4, v7
	s_wait_dscnt 0x2
	v_add_f32_e32 v4, v4, v8
	s_delay_alu instid0(VALU_DEP_1) | instskip(SKIP_3) | instid1(VALU_DEP_1)
	v_add_f32_e32 v6, v4, v9
	ds_load_2addr_b32 v[4:5], v14 offset0:9 offset1:10
	s_wait_dscnt 0x2
	v_add_f32_e32 v6, v6, v10
	v_add_f32_e32 v8, v6, v11
	ds_load_2addr_b32 v[6:7], v14 offset0:11 offset1:12
	s_wait_dscnt 0x2
	v_add_f32_e32 v8, v8, v12
	s_delay_alu instid0(VALU_DEP_1) | instskip(SKIP_4) | instid1(VALU_DEP_1)
	v_add_f32_e32 v12, v8, v13
	ds_load_2addr_b32 v[8:9], v14 offset0:13 offset1:14
	ds_load_2addr_b32 v[10:11], v14 offset0:15 offset1:16
	s_wait_dscnt 0x3
	v_add_f32_e32 v4, v12, v4
	v_add_f32_e32 v4, v4, v5
	s_wait_dscnt 0x2
	s_delay_alu instid0(VALU_DEP_1) | instskip(NEXT) | instid1(VALU_DEP_1)
	v_add_f32_e32 v4, v4, v6
	v_add_f32_e32 v6, v4, v7
	ds_load_2addr_b32 v[4:5], v14 offset0:17 offset1:18
	s_wait_dscnt 0x2
	v_add_f32_e32 v6, v6, v8
	s_delay_alu instid0(VALU_DEP_1) | instskip(SKIP_3) | instid1(VALU_DEP_1)
	v_add_f32_e32 v8, v6, v9
	ds_load_2addr_b32 v[6:7], v14 offset0:19 offset1:20
	s_wait_dscnt 0x2
	v_add_f32_e32 v8, v8, v10
	v_add_f32_e32 v12, v8, v11
	ds_load_2addr_b32 v[8:9], v14 offset0:21 offset1:22
	ds_load_2addr_b32 v[10:11], v14 offset0:23 offset1:24
	s_wait_dscnt 0x3
	v_add_f32_e32 v4, v12, v4
	s_delay_alu instid0(VALU_DEP_1) | instskip(SKIP_1) | instid1(VALU_DEP_1)
	v_add_f32_e32 v4, v4, v5
	s_wait_dscnt 0x2
	v_add_f32_e32 v4, v4, v6
	s_delay_alu instid0(VALU_DEP_1) | instskip(SKIP_1) | instid1(VALU_DEP_1)
	v_add_f32_e32 v4, v4, v7
	s_wait_dscnt 0x1
	v_add_f32_e32 v6, v4, v8
	ds_load_2addr_b32 v[4:5], v14 offset0:25 offset1:26
	v_add_f32_e32 v6, v6, v9
	s_wait_dscnt 0x1
	s_delay_alu instid0(VALU_DEP_1)
	v_add_f32_e32 v8, v6, v10
	ds_load_2addr_b32 v[6:7], v14 offset0:27 offset1:28
	v_add_f32_e32 v10, v8, v11
	ds_load_2addr_b32 v[8:9], v14 offset0:29 offset1:30
	ds_load_b32 v11, v14 offset:124
	s_wait_dscnt 0x3
	v_add_f32_e32 v4, v10, v4
	s_delay_alu instid0(VALU_DEP_1) | instskip(SKIP_1) | instid1(VALU_DEP_1)
	v_add_f32_e32 v4, v4, v5
	s_wait_dscnt 0x2
	v_add_f32_e32 v4, v4, v6
	s_delay_alu instid0(VALU_DEP_1) | instskip(SKIP_1) | instid1(VALU_DEP_1)
	v_add_f32_e32 v4, v4, v7
	;; [unrolled: 4-line block ×3, first 2 shown]
	s_wait_dscnt 0x0
	v_add_f32_e32 v4, v4, v11
	ds_store_b32 v14, v4
.LBB14_10:
	s_or_b32 exec_lo, exec_lo, s1
	s_wait_dscnt 0x0
	s_barrier_signal -1
	s_barrier_wait -1
	s_and_saveexec_b32 s14, vcc_lo
	s_cbranch_execz .LBB14_20
; %bb.11:
	v_mov_b32_e32 v4, 0
	s_mul_u64 s[10:11], s[10:11], s[30:31]
	s_lshl_b64 s[8:9], s[8:9], 2
	s_lshl_b64 s[10:11], s[10:11], 2
	s_delay_alu instid0(SALU_CYCLE_1)
	s_add_nc_u64 s[6:7], s[6:7], s[10:11]
	ds_load_b32 v5, v4
	s_mul_u64 s[10:11], s[12:13], s[30:31]
	s_add_nc_u64 s[6:7], s[6:7], s[8:9]
	s_lshl_b64 s[10:11], s[10:11], 2
	s_cmp_eq_u64 s[28:29], 0
	s_add_nc_u64 s[8:9], s[26:27], s[10:11]
	s_cselect_b32 s10, -1, 0
	s_cmp_lg_u64 s[28:29], 0
	s_mov_b32 s12, 0
	s_cselect_b32 s11, -1, 0
	s_wait_dscnt 0x0
	v_cmp_nlt_f32_e32 vcc_lo, 0, v5
	v_readfirstlane_b32 s1, v5
	s_cbranch_vccz .LBB14_14
; %bb.12:
	v_mov_b32_e32 v5, 1.0
	s_mov_b32 s15, 0
	s_and_b32 vcc_lo, exec_lo, s11
	global_store_b32 v4, v4, s[8:9]
	ds_store_b32 v4, v5
	s_cbranch_vccz .LBB14_15
; %bb.13:
	s_wait_xcnt 0x0
	v_mov_b32_e32 v4, 0
	s_mov_b32 s13, -1
	global_load_b32 v4, v4, s[6:7]
	s_and_b32 vcc_lo, exec_lo, s15
	s_cbranch_vccnz .LBB14_16
	s_branch .LBB14_17
.LBB14_14:
	s_mov_b32 s15, -1
.LBB14_15:
	s_mov_b32 s13, 0
                                        ; implicit-def: $vgpr4
	s_and_b32 vcc_lo, exec_lo, s15
	s_cbranch_vccz .LBB14_17
.LBB14_16:
	v_mov_b32_e32 v5, 0
	global_load_b32 v6, v5, s[6:7]
	s_wait_loadcnt 0x0
	v_readfirstlane_b32 s12, v6
	v_cmp_le_f32_e32 vcc_lo, 0, v6
	s_fmac_f32 s1, s12, s12
	s_delay_alu instid0(SALU_CYCLE_3) | instskip(SKIP_1) | instid1(SALU_CYCLE_2)
	s_mul_f32 s12, s1, 0x4f800000
	s_cmp_lt_f32 s1, 0xf800000
	s_cselect_b32 s12, s12, s1
	s_delay_alu instid0(SALU_CYCLE_1) | instskip(SKIP_1) | instid1(TRANS32_DEP_1)
	v_s_sqrt_f32 s13, s12
	s_mov_b32 s16, s12
	s_add_co_i32 s15, s13, -1
	s_delay_alu instid0(SALU_CYCLE_1) | instskip(NEXT) | instid1(SALU_CYCLE_1)
	s_xor_b32 s17, s15, 0x80000000
	s_fmac_f32 s16, s17, s13
	s_mov_b32 s17, s12
	s_delay_alu instid0(SALU_CYCLE_2) | instskip(SKIP_2) | instid1(SALU_CYCLE_1)
	s_cmp_le_f32 s16, 0
	s_cselect_b32 s15, s15, s13
	s_add_co_i32 s16, s13, 1
	s_xor_b32 s24, s16, 0x80000000
	s_delay_alu instid0(SALU_CYCLE_1) | instskip(SKIP_1) | instid1(SALU_CYCLE_2)
	s_fmac_f32 s17, s24, s13
	v_cmp_class_f32_e64 s13, s12, 0x260
	s_cmp_gt_f32 s17, 0
	s_cselect_b32 s15, s16, s15
	s_cmp_lt_f32 s1, 0xf800000
	s_mul_f32 s1, s15, 0x37800000
	s_delay_alu instid0(SALU_CYCLE_3)
	s_cselect_b32 s1, s1, s15
	s_and_b32 s13, s13, exec_lo
	s_cselect_b32 s1, s12, s1
	s_mov_b32 s13, s11
	s_xor_b32 s12, s1, 0x80000000
	s_wait_xcnt 0x1
	v_mov_b32_e32 v4, s12
	s_mov_b32 s12, s10
	s_delay_alu instid0(VALU_DEP_1) | instskip(NEXT) | instid1(VALU_DEP_1)
	v_cndmask_b32_e32 v4, s1, v4, vcc_lo
	v_sub_f32_e32 v7, v6, v4
	s_delay_alu instid0(VALU_DEP_1) | instskip(NEXT) | instid1(VALU_DEP_1)
	v_div_scale_f32 v8, null, v7, v7, 1.0
	v_rcp_f32_e32 v10, v8
	v_nop
	v_xor_b32_e32 v8, 0x80000000, v8
	s_delay_alu instid0(TRANS32_DEP_1) | instid1(VALU_DEP_1)
	v_fma_f32 v12, v8, v10, 1.0
	s_delay_alu instid0(VALU_DEP_1) | instskip(SKIP_2) | instid1(VALU_DEP_2)
	v_fmac_f32_e32 v10, v12, v10
	v_sub_f32_e32 v6, v4, v6
	v_div_scale_f32 v14, vcc_lo, 1.0, v7, 1.0
	v_div_scale_f32 v9, null, v4, v4, v6
	v_div_scale_f32 v12, s1, v6, v4, v6
	s_delay_alu instid0(VALU_DEP_2)
	v_rcp_f32_e32 v11, v9
	v_nop
	v_xor_b32_e32 v9, 0x80000000, v9
	s_delay_alu instid0(TRANS32_DEP_1) | instid1(VALU_DEP_1)
	v_fma_f32 v13, v9, v11, 1.0
	s_delay_alu instid0(VALU_DEP_1) | instskip(NEXT) | instid1(VALU_DEP_1)
	v_dual_fmac_f32 v11, v13, v11 :: v_dual_mul_f32 v13, v14, v10
	v_mul_f32_e32 v15, v12, v11
	s_delay_alu instid0(VALU_DEP_1) | instskip(NEXT) | instid1(VALU_DEP_1)
	v_dual_fma_f32 v16, v8, v13, v14 :: v_dual_fma_f32 v17, v9, v15, v12
	v_dual_fmac_f32 v13, v16, v10 :: v_dual_fmac_f32 v15, v17, v11
	s_delay_alu instid0(VALU_DEP_1) | instskip(NEXT) | instid1(VALU_DEP_1)
	v_dual_fmac_f32 v14, v8, v13 :: v_dual_fmac_f32 v12, v9, v15
	v_div_fmas_f32 v8, v14, v10, v13
	s_mov_b32 vcc_lo, s1
	s_delay_alu instid0(VALU_DEP_2) | instskip(NEXT) | instid1(VALU_DEP_2)
	v_div_fmas_f32 v9, v12, v11, v15
	v_div_fixup_f32 v7, v8, v7, 1.0
	s_delay_alu instid0(VALU_DEP_2)
	v_div_fixup_f32 v6, v9, v4, v6
	ds_store_b32 v5, v7
	global_store_b32 v5, v6, s[8:9]
.LBB14_17:
	s_and_not1_b32 vcc_lo, exec_lo, s13
	s_cbranch_vccz .LBB14_24
; %bb.18:
	s_and_not1_b32 vcc_lo, exec_lo, s12
	s_cbranch_vccnz .LBB14_20
.LBB14_19:
	s_wait_xcnt 0x0
	v_mov_b32_e32 v5, 0
	s_wait_loadcnt 0x0
	global_store_b32 v5, v4, s[6:7]
.LBB14_20:
	s_wait_xcnt 0x0
	s_or_b32 exec_lo, exec_lo, s14
	s_wait_storecnt 0x0
	s_wait_loadcnt_dscnt 0x0
	s_barrier_signal -1
	s_barrier_wait -1
	s_and_saveexec_b32 s1, s0
	s_cbranch_execz .LBB14_23
; %bb.21:
	v_mov_b32_e32 v4, 0
	s_lshl_b64 s[0:1], s[20:21], 2
	s_lshl_b64 s[4:5], s[4:5], 2
	s_add_nc_u64 s[0:1], s[18:19], s[0:1]
	s_delay_alu instid0(SALU_CYCLE_1)
	s_add_nc_u64 s[0:1], s[0:1], s[4:5]
	ds_load_b32 v4, v4
	v_lshl_add_u64 v[2:3], v[2:3], 2, s[0:1]
	s_lshl_b64 s[0:1], s[22:23], 12
	s_mov_b32 s4, 0
.LBB14_22:                              ; =>This Inner Loop Header: Depth=1
	global_load_b32 v5, v[2:3], off
	v_add_nc_u64_e32 v[0:1], 0x400, v[0:1]
	s_delay_alu instid0(VALU_DEP_1)
	v_cmp_le_i64_e32 vcc_lo, s[2:3], v[0:1]
	s_or_b32 s4, vcc_lo, s4
	s_wait_loadcnt_dscnt 0x0
	v_mul_f32_e32 v5, v4, v5
	global_store_b32 v[2:3], v5, off
	s_wait_xcnt 0x0
	v_add_nc_u64_e32 v[2:3], s[0:1], v[2:3]
	s_and_not1_b32 exec_lo, exec_lo, s4
	s_cbranch_execnz .LBB14_22
.LBB14_23:
	s_endpgm
.LBB14_24:
	s_wait_xcnt 0x0
	v_mov_b32_e32 v5, 0
	s_wait_loadcnt 0x0
	global_store_b32 v5, v4, s[28:29]
	s_wait_xcnt 0x0
	v_mov_b32_e32 v4, 1.0
	s_branch .LBB14_19
	.section	.rodata,"a",@progbits
	.p2align	6, 0x0
	.amdhsa_kernel _ZN9rocsolver6v33100L18larfg_kernel_smallILi1024EflfPfEEvT1_T3_llPT2_llS4_lS3_lPT0_l
		.amdhsa_group_segment_fixed_size 128
		.amdhsa_private_segment_fixed_size 0
		.amdhsa_kernarg_size 104
		.amdhsa_user_sgpr_count 2
		.amdhsa_user_sgpr_dispatch_ptr 0
		.amdhsa_user_sgpr_queue_ptr 0
		.amdhsa_user_sgpr_kernarg_segment_ptr 1
		.amdhsa_user_sgpr_dispatch_id 0
		.amdhsa_user_sgpr_kernarg_preload_length 0
		.amdhsa_user_sgpr_kernarg_preload_offset 0
		.amdhsa_user_sgpr_private_segment_size 0
		.amdhsa_wavefront_size32 1
		.amdhsa_uses_dynamic_stack 0
		.amdhsa_enable_private_segment 0
		.amdhsa_system_sgpr_workgroup_id_x 1
		.amdhsa_system_sgpr_workgroup_id_y 0
		.amdhsa_system_sgpr_workgroup_id_z 1
		.amdhsa_system_sgpr_workgroup_info 0
		.amdhsa_system_vgpr_workitem_id 0
		.amdhsa_next_free_vgpr 18
		.amdhsa_next_free_sgpr 32
		.amdhsa_named_barrier_count 0
		.amdhsa_reserve_vcc 1
		.amdhsa_float_round_mode_32 0
		.amdhsa_float_round_mode_16_64 0
		.amdhsa_float_denorm_mode_32 3
		.amdhsa_float_denorm_mode_16_64 3
		.amdhsa_fp16_overflow 0
		.amdhsa_memory_ordered 1
		.amdhsa_forward_progress 1
		.amdhsa_inst_pref_size 14
		.amdhsa_round_robin_scheduling 0
		.amdhsa_exception_fp_ieee_invalid_op 0
		.amdhsa_exception_fp_denorm_src 0
		.amdhsa_exception_fp_ieee_div_zero 0
		.amdhsa_exception_fp_ieee_overflow 0
		.amdhsa_exception_fp_ieee_underflow 0
		.amdhsa_exception_fp_ieee_inexact 0
		.amdhsa_exception_int_div_zero 0
	.end_amdhsa_kernel
	.section	.text._ZN9rocsolver6v33100L18larfg_kernel_smallILi1024EflfPfEEvT1_T3_llPT2_llS4_lS3_lPT0_l,"axG",@progbits,_ZN9rocsolver6v33100L18larfg_kernel_smallILi1024EflfPfEEvT1_T3_llPT2_llS4_lS3_lPT0_l,comdat
.Lfunc_end14:
	.size	_ZN9rocsolver6v33100L18larfg_kernel_smallILi1024EflfPfEEvT1_T3_llPT2_llS4_lS3_lPT0_l, .Lfunc_end14-_ZN9rocsolver6v33100L18larfg_kernel_smallILi1024EflfPfEEvT1_T3_llPT2_llS4_lS3_lPT0_l
                                        ; -- End function
	.set _ZN9rocsolver6v33100L18larfg_kernel_smallILi1024EflfPfEEvT1_T3_llPT2_llS4_lS3_lPT0_l.num_vgpr, 18
	.set _ZN9rocsolver6v33100L18larfg_kernel_smallILi1024EflfPfEEvT1_T3_llPT2_llS4_lS3_lPT0_l.num_agpr, 0
	.set _ZN9rocsolver6v33100L18larfg_kernel_smallILi1024EflfPfEEvT1_T3_llPT2_llS4_lS3_lPT0_l.numbered_sgpr, 32
	.set _ZN9rocsolver6v33100L18larfg_kernel_smallILi1024EflfPfEEvT1_T3_llPT2_llS4_lS3_lPT0_l.num_named_barrier, 0
	.set _ZN9rocsolver6v33100L18larfg_kernel_smallILi1024EflfPfEEvT1_T3_llPT2_llS4_lS3_lPT0_l.private_seg_size, 0
	.set _ZN9rocsolver6v33100L18larfg_kernel_smallILi1024EflfPfEEvT1_T3_llPT2_llS4_lS3_lPT0_l.uses_vcc, 1
	.set _ZN9rocsolver6v33100L18larfg_kernel_smallILi1024EflfPfEEvT1_T3_llPT2_llS4_lS3_lPT0_l.uses_flat_scratch, 0
	.set _ZN9rocsolver6v33100L18larfg_kernel_smallILi1024EflfPfEEvT1_T3_llPT2_llS4_lS3_lPT0_l.has_dyn_sized_stack, 0
	.set _ZN9rocsolver6v33100L18larfg_kernel_smallILi1024EflfPfEEvT1_T3_llPT2_llS4_lS3_lPT0_l.has_recursion, 0
	.set _ZN9rocsolver6v33100L18larfg_kernel_smallILi1024EflfPfEEvT1_T3_llPT2_llS4_lS3_lPT0_l.has_indirect_call, 0
	.section	.AMDGPU.csdata,"",@progbits
; Kernel info:
; codeLenInByte = 1764
; TotalNumSgprs: 34
; NumVgprs: 18
; ScratchSize: 0
; MemoryBound: 0
; FloatMode: 240
; IeeeMode: 1
; LDSByteSize: 128 bytes/workgroup (compile time only)
; SGPRBlocks: 0
; VGPRBlocks: 1
; NumSGPRsForWavesPerEU: 34
; NumVGPRsForWavesPerEU: 18
; NamedBarCnt: 0
; Occupancy: 16
; WaveLimiterHint : 0
; COMPUTE_PGM_RSRC2:SCRATCH_EN: 0
; COMPUTE_PGM_RSRC2:USER_SGPR: 2
; COMPUTE_PGM_RSRC2:TRAP_HANDLER: 0
; COMPUTE_PGM_RSRC2:TGID_X_EN: 1
; COMPUTE_PGM_RSRC2:TGID_Y_EN: 0
; COMPUTE_PGM_RSRC2:TGID_Z_EN: 1
; COMPUTE_PGM_RSRC2:TIDIG_COMP_CNT: 0
	.section	.text._ZN9rocsolver6v33100L18larfg_kernel_smallILi64EflfPKPfEEvT1_T3_llPT2_llS6_lS5_lPT0_l,"axG",@progbits,_ZN9rocsolver6v33100L18larfg_kernel_smallILi64EflfPKPfEEvT1_T3_llPT2_llS6_lS5_lPT0_l,comdat
	.globl	_ZN9rocsolver6v33100L18larfg_kernel_smallILi64EflfPKPfEEvT1_T3_llPT2_llS6_lS5_lPT0_l ; -- Begin function _ZN9rocsolver6v33100L18larfg_kernel_smallILi64EflfPKPfEEvT1_T3_llPT2_llS6_lS5_lPT0_l
	.p2align	8
	.type	_ZN9rocsolver6v33100L18larfg_kernel_smallILi64EflfPKPfEEvT1_T3_llPT2_llS6_lS5_lPT0_l,@function
_ZN9rocsolver6v33100L18larfg_kernel_smallILi64EflfPKPfEEvT1_T3_llPT2_llS6_lS5_lPT0_l: ; @_ZN9rocsolver6v33100L18larfg_kernel_smallILi64EflfPKPfEEvT1_T3_llPT2_llS6_lS5_lPT0_l
; %bb.0:
	s_clause 0x3
	s_load_b256 s[4:11], s[0:1], 0x20
	s_load_b128 s[16:19], s[0:1], 0x0
	s_load_b64 s[22:23], s[0:1], 0x10
	s_load_b128 s[12:15], s[0:1], 0x40
	s_bfe_u32 s2, ttmp6, 0x40014
	s_lshr_b32 s3, ttmp7, 16
	s_add_co_i32 s2, s2, 1
	s_bfe_u32 s20, ttmp6, 0x40008
	s_mul_i32 s2, s3, s2
	s_getreg_b32 s21, hwreg(HW_REG_IB_STS2, 6, 4)
	s_add_co_i32 s20, s20, s2
	s_cmp_eq_u32 s21, 0
	s_mov_b32 s25, 0
	s_cselect_b32 s24, s3, s20
	s_mov_b64 s[20:21], 0
	s_wait_kmcnt 0x0
	s_cmp_eq_u64 s[4:5], 0
	s_cbranch_scc1 .LBB15_2
; %bb.1:
	s_mul_u64 s[2:3], s[8:9], s[24:25]
	s_delay_alu instid0(SALU_CYCLE_1) | instskip(NEXT) | instid1(SALU_CYCLE_1)
	s_lshl_b64 s[2:3], s[2:3], 2
	s_add_nc_u64 s[2:3], s[4:5], s[2:3]
	s_lshl_b64 s[4:5], s[6:7], 2
	s_delay_alu instid0(SALU_CYCLE_1)
	s_add_nc_u64 s[20:21], s[2:3], s[4:5]
.LBB15_2:
	v_mov_b32_e32 v1, 0
	s_load_b64 s[8:9], s[18:19], s24 offset:0x0 scale_offset
	s_load_b64 s[6:7], s[10:11], s24 offset:0x0 scale_offset
	s_add_nc_u64 s[4:5], s[16:17], -1
	s_delay_alu instid0(VALU_DEP_1)
	v_mul_u64_e32 v[2:3], s[14:15], v[0:1]
	v_cmp_gt_i64_e64 s2, s[4:5], v[0:1]
	v_mov_b32_e32 v8, v1
	s_and_saveexec_b32 s3, s2
	s_cbranch_execz .LBB15_6
; %bb.3:
	s_wait_xcnt 0x0
	s_lshl_b64 s[10:11], s[12:13], 2
	v_mov_b64_e32 v[6:7], v[0:1]
	s_wait_kmcnt 0x0
	s_add_nc_u64 s[10:11], s[6:7], s[10:11]
	v_mov_b32_e32 v8, 0
	v_lshl_add_u64 v[4:5], v[2:3], 2, s[10:11]
	s_lshl_b64 s[10:11], s[14:15], 8
	s_mov_b32 s16, 0
.LBB15_4:                               ; =>This Inner Loop Header: Depth=1
	flat_load_b32 v9, v[4:5]
	v_add_nc_u64_e32 v[6:7], 64, v[6:7]
	s_wait_xcnt 0x0
	v_add_nc_u64_e32 v[4:5], s[10:11], v[4:5]
	s_delay_alu instid0(VALU_DEP_2)
	v_cmp_le_i64_e32 vcc_lo, s[4:5], v[6:7]
	s_or_b32 s16, vcc_lo, s16
	s_wait_loadcnt_dscnt 0x0
	v_fmac_f32_e32 v8, v9, v9
	s_and_not1_b32 exec_lo, exec_lo, s16
	s_cbranch_execnz .LBB15_4
; %bb.5:
	s_or_b32 exec_lo, exec_lo, s16
.LBB15_6:
	s_delay_alu instid0(SALU_CYCLE_1) | instskip(SKIP_2) | instid1(VALU_DEP_1)
	s_or_b32 exec_lo, exec_lo, s3
	v_mbcnt_lo_u32_b32 v4, -1, 0
	s_mov_b32 s3, exec_lo
	v_cmp_ne_u32_e32 vcc_lo, 31, v4
	v_add_co_ci_u32_e64 v5, null, 0, v4, vcc_lo
	v_cmp_gt_u32_e32 vcc_lo, 30, v4
	s_delay_alu instid0(VALU_DEP_2)
	v_lshlrev_b32_e32 v5, 2, v5
	v_cndmask_b32_e64 v6, 0, 2, vcc_lo
	v_cmp_gt_u32_e32 vcc_lo, 28, v4
	ds_bpermute_b32 v5, v5, v8
	v_add_lshl_u32 v6, v6, v4, 2
	v_cndmask_b32_e64 v7, 0, 4, vcc_lo
	v_cmp_gt_u32_e32 vcc_lo, 24, v4
	s_delay_alu instid0(VALU_DEP_2)
	v_add_lshl_u32 v7, v7, v4, 2
	s_wait_dscnt 0x0
	v_add_f32_e32 v5, v8, v5
	ds_bpermute_b32 v6, v6, v5
	s_wait_dscnt 0x0
	v_add_f32_e32 v5, v5, v6
	ds_bpermute_b32 v6, v7, v5
	v_cndmask_b32_e64 v7, 0, 8, vcc_lo
	s_delay_alu instid0(VALU_DEP_1)
	v_add_lshl_u32 v7, v7, v4, 2
	v_lshl_or_b32 v4, v4, 2, 64
	s_wait_dscnt 0x0
	v_add_f32_e32 v5, v5, v6
	ds_bpermute_b32 v6, v7, v5
	s_wait_dscnt 0x0
	v_dual_add_f32 v5, v5, v6 :: v_dual_bitop2_b32 v6, 31, v0 bitop3:0x40
	ds_bpermute_b32 v4, v4, v5
	s_wait_dscnt 0x0
	v_add_f32_e32 v4, v5, v4
	v_cmpx_eq_u32_e32 0, v6
; %bb.7:
	v_lshrrev_b32_e32 v5, 3, v0
	ds_store_b32 v5, v4
; %bb.8:
	s_or_b32 exec_lo, exec_lo, s3
	v_cmp_eq_u32_e32 vcc_lo, 0, v0
	s_wait_dscnt 0x0
	s_barrier_signal -1
	s_barrier_wait -1
	s_and_saveexec_b32 s3, vcc_lo
	s_cbranch_execz .LBB15_10
; %bb.9:
	v_mov_b32_e32 v5, 0
	ds_load_b32 v6, v5 offset:4
	s_wait_dscnt 0x0
	v_add_f32_e32 v4, v4, v6
	ds_store_b32 v5, v4
.LBB15_10:
	s_or_b32 exec_lo, exec_lo, s3
	s_wait_dscnt 0x0
	s_barrier_signal -1
	s_barrier_wait -1
	s_and_saveexec_b32 s3, vcc_lo
	s_cbranch_execz .LBB15_17
; %bb.11:
	v_mov_b32_e32 v6, 0
	s_wait_xcnt 0x0
	s_load_b128 s[16:19], s[0:1], 0x58
	s_wait_xcnt 0x0
	s_lshl_b64 s[0:1], s[22:23], 2
	s_wait_kmcnt 0x0
	s_add_nc_u64 s[8:9], s[8:9], s[0:1]
	ds_load_b32 v5, v6
	s_mov_b32 s0, 0
	s_mul_u64 s[10:11], s[18:19], s[24:25]
	s_delay_alu instid0(SALU_CYCLE_1)
	s_lshl_b64 s[10:11], s[10:11], 2
	s_cmp_eq_u64 s[20:21], 0
	s_wait_dscnt 0x0
	v_cmp_nlt_f32_e32 vcc_lo, 0, v5
	s_cselect_b32 s1, -1, 0
	s_cmp_lg_u64 s[20:21], 0
	s_add_nc_u64 s[10:11], s[16:17], s[10:11]
	s_cselect_b32 s16, -1, 0
	s_cbranch_vccz .LBB15_21
; %bb.12:
	v_mov_b32_e32 v7, 1.0
	s_mov_b32 s18, 0
	s_and_b32 vcc_lo, exec_lo, s16
	s_mov_b32 s17, 0
                                        ; implicit-def: $vgpr4
	global_store_b32 v6, v6, s[10:11]
	ds_store_b32 v6, v7
	s_cbranch_vccnz .LBB15_22
; %bb.13:
	s_and_b32 vcc_lo, exec_lo, s18
	s_cbranch_vccnz .LBB15_23
.LBB15_14:
	s_and_not1_b32 vcc_lo, exec_lo, s17
	s_cbranch_vccz .LBB15_24
.LBB15_15:
	s_and_not1_b32 vcc_lo, exec_lo, s0
	s_cbranch_vccnz .LBB15_17
.LBB15_16:
	s_wait_xcnt 0x0
	v_mov_b32_e32 v5, 0
	s_wait_loadcnt_dscnt 0x0
	flat_store_b32 v5, v4, s[8:9]
.LBB15_17:
	s_wait_xcnt 0x0
	s_or_b32 exec_lo, exec_lo, s3
	s_wait_storecnt 0x0
	s_wait_loadcnt_dscnt 0x0
	s_barrier_signal -1
	s_barrier_wait -1
	s_and_saveexec_b32 s0, s2
	s_cbranch_execz .LBB15_20
; %bb.18:
	v_mov_b32_e32 v4, 0
	s_lshl_b64 s[0:1], s[12:13], 2
	s_mov_b32 s2, 0
	s_wait_kmcnt 0x0
	s_add_nc_u64 s[0:1], s[6:7], s[0:1]
	s_delay_alu instid0(SALU_CYCLE_1)
	v_lshl_add_u64 v[2:3], v[2:3], 2, s[0:1]
	ds_load_b32 v4, v4
	s_lshl_b64 s[0:1], s[14:15], 8
.LBB15_19:                              ; =>This Inner Loop Header: Depth=1
	flat_load_b32 v5, v[2:3]
	v_add_nc_u64_e32 v[0:1], 64, v[0:1]
	s_delay_alu instid0(VALU_DEP_1)
	v_cmp_le_i64_e32 vcc_lo, s[4:5], v[0:1]
	s_or_b32 s2, vcc_lo, s2
	s_wait_loadcnt_dscnt 0x0
	v_mul_f32_e32 v5, v4, v5
	flat_store_b32 v[2:3], v5
	s_wait_xcnt 0x0
	v_add_nc_u64_e32 v[2:3], s[0:1], v[2:3]
	s_and_not1_b32 exec_lo, exec_lo, s2
	s_cbranch_execnz .LBB15_19
.LBB15_20:
	s_endpgm
.LBB15_21:
	s_mov_b32 s17, 0
                                        ; implicit-def: $vgpr4
	s_cbranch_execz .LBB15_14
	s_branch .LBB15_23
.LBB15_22:
	v_mov_b32_e32 v4, 0
	s_mov_b32 s17, -1
	flat_load_b32 v4, v4, s[8:9]
	s_and_b32 vcc_lo, exec_lo, s18
	s_cbranch_vccz .LBB15_14
.LBB15_23:
	s_wait_xcnt 0x0
	v_mov_b32_e32 v6, 0
	s_mov_b32 s17, s16
	flat_load_b32 v7, v6, s[8:9]
	s_wait_loadcnt_dscnt 0x0
	v_fmac_f32_e32 v5, v7, v7
	s_delay_alu instid0(VALU_DEP_1) | instskip(SKIP_1) | instid1(VALU_DEP_2)
	v_mul_f32_e32 v4, 0x4f800000, v5
	v_cmp_gt_f32_e32 vcc_lo, 0xf800000, v5
	v_cndmask_b32_e32 v4, v5, v4, vcc_lo
	s_delay_alu instid0(VALU_DEP_1) | instskip(SKIP_1) | instid1(TRANS32_DEP_1)
	v_sqrt_f32_e32 v5, v4
	v_nop
	v_dual_add_nc_u32 v8, -1, v5 :: v_dual_add_nc_u32 v9, 1, v5
	s_delay_alu instid0(VALU_DEP_1) | instskip(NEXT) | instid1(VALU_DEP_1)
	v_dual_fma_f32 v10, -v8, v5, v4 :: v_dual_fma_f32 v11, -v9, v5, v4
	v_cmp_ge_f32_e64 s0, 0, v10
	s_delay_alu instid0(VALU_DEP_1) | instskip(NEXT) | instid1(VALU_DEP_3)
	v_cndmask_b32_e64 v5, v5, v8, s0
	v_cmp_lt_f32_e64 s0, 0, v11
	s_delay_alu instid0(VALU_DEP_1) | instskip(SKIP_1) | instid1(VALU_DEP_1)
	v_cndmask_b32_e64 v5, v5, v9, s0
	s_mov_b32 s0, s1
	v_mul_f32_e32 v8, 0x37800000, v5
	s_delay_alu instid0(VALU_DEP_1) | instskip(SKIP_1) | instid1(VALU_DEP_2)
	v_cndmask_b32_e32 v5, v5, v8, vcc_lo
	v_cmp_class_f32_e64 vcc_lo, v4, 0x260
	v_cndmask_b32_e32 v4, v5, v4, vcc_lo
	v_cmp_le_f32_e32 vcc_lo, 0, v7
	s_delay_alu instid0(VALU_DEP_2) | instskip(NEXT) | instid1(VALU_DEP_1)
	v_cndmask_b32_e64 v4, v4, -v4, vcc_lo
	v_sub_f32_e32 v5, v7, v4
	s_delay_alu instid0(VALU_DEP_1) | instskip(SKIP_1) | instid1(VALU_DEP_2)
	v_div_scale_f32 v7, null, v5, v5, 1.0
	v_div_scale_f32 v10, vcc_lo, 1.0, v5, 1.0
	v_rcp_f32_e32 v8, v7
	v_nop
	s_delay_alu instid0(TRANS32_DEP_1) | instskip(NEXT) | instid1(VALU_DEP_1)
	v_fma_f32 v9, -v7, v8, 1.0
	v_fmac_f32_e32 v8, v9, v8
	s_delay_alu instid0(VALU_DEP_1) | instskip(NEXT) | instid1(VALU_DEP_1)
	v_mul_f32_e32 v9, v10, v8
	v_fma_f32 v11, -v7, v9, v10
	s_delay_alu instid0(VALU_DEP_1) | instskip(NEXT) | instid1(VALU_DEP_1)
	v_fmac_f32_e32 v9, v11, v8
	v_fma_f32 v7, -v7, v9, v10
	s_delay_alu instid0(VALU_DEP_1) | instskip(NEXT) | instid1(VALU_DEP_1)
	v_div_fmas_f32 v7, v7, v8, v9
	v_div_fixup_f32 v5, v7, v5, 1.0
	ds_store_b32 v6, v5
	flat_load_b32 v5, v6, s[8:9]
	s_wait_loadcnt_dscnt 0x0
	v_sub_f32_e32 v5, v4, v5
	s_delay_alu instid0(VALU_DEP_1) | instskip(NEXT) | instid1(VALU_DEP_1)
	v_div_scale_f32 v7, null, v4, v4, v5
	v_rcp_f32_e32 v8, v7
	v_nop
	s_delay_alu instid0(TRANS32_DEP_1) | instskip(NEXT) | instid1(VALU_DEP_1)
	v_fma_f32 v9, -v7, v8, 1.0
	v_fmac_f32_e32 v8, v9, v8
	v_div_scale_f32 v9, vcc_lo, v5, v4, v5
	s_delay_alu instid0(VALU_DEP_1) | instskip(NEXT) | instid1(VALU_DEP_1)
	v_mul_f32_e32 v10, v9, v8
	v_fma_f32 v11, -v7, v10, v9
	s_delay_alu instid0(VALU_DEP_1) | instskip(NEXT) | instid1(VALU_DEP_1)
	v_fmac_f32_e32 v10, v11, v8
	v_fma_f32 v7, -v7, v10, v9
	s_delay_alu instid0(VALU_DEP_1) | instskip(NEXT) | instid1(VALU_DEP_1)
	v_div_fmas_f32 v7, v7, v8, v10
	v_div_fixup_f32 v5, v7, v4, v5
	global_store_b32 v6, v5, s[10:11]
	s_and_not1_b32 vcc_lo, exec_lo, s17
	s_cbranch_vccnz .LBB15_15
.LBB15_24:
	s_wait_xcnt 0x0
	v_mov_b32_e32 v5, 0
	s_wait_loadcnt_dscnt 0x0
	global_store_b32 v5, v4, s[20:21]
	s_wait_xcnt 0x0
	v_mov_b32_e32 v4, 1.0
	s_branch .LBB15_16
	.section	.rodata,"a",@progbits
	.p2align	6, 0x0
	.amdhsa_kernel _ZN9rocsolver6v33100L18larfg_kernel_smallILi64EflfPKPfEEvT1_T3_llPT2_llS6_lS5_lPT0_l
		.amdhsa_group_segment_fixed_size 8
		.amdhsa_private_segment_fixed_size 0
		.amdhsa_kernarg_size 104
		.amdhsa_user_sgpr_count 2
		.amdhsa_user_sgpr_dispatch_ptr 0
		.amdhsa_user_sgpr_queue_ptr 0
		.amdhsa_user_sgpr_kernarg_segment_ptr 1
		.amdhsa_user_sgpr_dispatch_id 0
		.amdhsa_user_sgpr_kernarg_preload_length 0
		.amdhsa_user_sgpr_kernarg_preload_offset 0
		.amdhsa_user_sgpr_private_segment_size 0
		.amdhsa_wavefront_size32 1
		.amdhsa_uses_dynamic_stack 0
		.amdhsa_enable_private_segment 0
		.amdhsa_system_sgpr_workgroup_id_x 1
		.amdhsa_system_sgpr_workgroup_id_y 0
		.amdhsa_system_sgpr_workgroup_id_z 1
		.amdhsa_system_sgpr_workgroup_info 0
		.amdhsa_system_vgpr_workitem_id 0
		.amdhsa_next_free_vgpr 12
		.amdhsa_next_free_sgpr 26
		.amdhsa_named_barrier_count 0
		.amdhsa_reserve_vcc 1
		.amdhsa_float_round_mode_32 0
		.amdhsa_float_round_mode_16_64 0
		.amdhsa_float_denorm_mode_32 3
		.amdhsa_float_denorm_mode_16_64 3
		.amdhsa_fp16_overflow 0
		.amdhsa_memory_ordered 1
		.amdhsa_forward_progress 1
		.amdhsa_inst_pref_size 11
		.amdhsa_round_robin_scheduling 0
		.amdhsa_exception_fp_ieee_invalid_op 0
		.amdhsa_exception_fp_denorm_src 0
		.amdhsa_exception_fp_ieee_div_zero 0
		.amdhsa_exception_fp_ieee_overflow 0
		.amdhsa_exception_fp_ieee_underflow 0
		.amdhsa_exception_fp_ieee_inexact 0
		.amdhsa_exception_int_div_zero 0
	.end_amdhsa_kernel
	.section	.text._ZN9rocsolver6v33100L18larfg_kernel_smallILi64EflfPKPfEEvT1_T3_llPT2_llS6_lS5_lPT0_l,"axG",@progbits,_ZN9rocsolver6v33100L18larfg_kernel_smallILi64EflfPKPfEEvT1_T3_llPT2_llS6_lS5_lPT0_l,comdat
.Lfunc_end15:
	.size	_ZN9rocsolver6v33100L18larfg_kernel_smallILi64EflfPKPfEEvT1_T3_llPT2_llS6_lS5_lPT0_l, .Lfunc_end15-_ZN9rocsolver6v33100L18larfg_kernel_smallILi64EflfPKPfEEvT1_T3_llPT2_llS6_lS5_lPT0_l
                                        ; -- End function
	.set _ZN9rocsolver6v33100L18larfg_kernel_smallILi64EflfPKPfEEvT1_T3_llPT2_llS6_lS5_lPT0_l.num_vgpr, 12
	.set _ZN9rocsolver6v33100L18larfg_kernel_smallILi64EflfPKPfEEvT1_T3_llPT2_llS6_lS5_lPT0_l.num_agpr, 0
	.set _ZN9rocsolver6v33100L18larfg_kernel_smallILi64EflfPKPfEEvT1_T3_llPT2_llS6_lS5_lPT0_l.numbered_sgpr, 26
	.set _ZN9rocsolver6v33100L18larfg_kernel_smallILi64EflfPKPfEEvT1_T3_llPT2_llS6_lS5_lPT0_l.num_named_barrier, 0
	.set _ZN9rocsolver6v33100L18larfg_kernel_smallILi64EflfPKPfEEvT1_T3_llPT2_llS6_lS5_lPT0_l.private_seg_size, 0
	.set _ZN9rocsolver6v33100L18larfg_kernel_smallILi64EflfPKPfEEvT1_T3_llPT2_llS6_lS5_lPT0_l.uses_vcc, 1
	.set _ZN9rocsolver6v33100L18larfg_kernel_smallILi64EflfPKPfEEvT1_T3_llPT2_llS6_lS5_lPT0_l.uses_flat_scratch, 0
	.set _ZN9rocsolver6v33100L18larfg_kernel_smallILi64EflfPKPfEEvT1_T3_llPT2_llS6_lS5_lPT0_l.has_dyn_sized_stack, 0
	.set _ZN9rocsolver6v33100L18larfg_kernel_smallILi64EflfPKPfEEvT1_T3_llPT2_llS6_lS5_lPT0_l.has_recursion, 0
	.set _ZN9rocsolver6v33100L18larfg_kernel_smallILi64EflfPKPfEEvT1_T3_llPT2_llS6_lS5_lPT0_l.has_indirect_call, 0
	.section	.AMDGPU.csdata,"",@progbits
; Kernel info:
; codeLenInByte = 1404
; TotalNumSgprs: 28
; NumVgprs: 12
; ScratchSize: 0
; MemoryBound: 0
; FloatMode: 240
; IeeeMode: 1
; LDSByteSize: 8 bytes/workgroup (compile time only)
; SGPRBlocks: 0
; VGPRBlocks: 0
; NumSGPRsForWavesPerEU: 28
; NumVGPRsForWavesPerEU: 12
; NamedBarCnt: 0
; Occupancy: 16
; WaveLimiterHint : 1
; COMPUTE_PGM_RSRC2:SCRATCH_EN: 0
; COMPUTE_PGM_RSRC2:USER_SGPR: 2
; COMPUTE_PGM_RSRC2:TRAP_HANDLER: 0
; COMPUTE_PGM_RSRC2:TGID_X_EN: 1
; COMPUTE_PGM_RSRC2:TGID_Y_EN: 0
; COMPUTE_PGM_RSRC2:TGID_Z_EN: 1
; COMPUTE_PGM_RSRC2:TIDIG_COMP_CNT: 0
	.section	.text._ZN9rocsolver6v33100L18larfg_kernel_smallILi128EflfPKPfEEvT1_T3_llPT2_llS6_lS5_lPT0_l,"axG",@progbits,_ZN9rocsolver6v33100L18larfg_kernel_smallILi128EflfPKPfEEvT1_T3_llPT2_llS6_lS5_lPT0_l,comdat
	.globl	_ZN9rocsolver6v33100L18larfg_kernel_smallILi128EflfPKPfEEvT1_T3_llPT2_llS6_lS5_lPT0_l ; -- Begin function _ZN9rocsolver6v33100L18larfg_kernel_smallILi128EflfPKPfEEvT1_T3_llPT2_llS6_lS5_lPT0_l
	.p2align	8
	.type	_ZN9rocsolver6v33100L18larfg_kernel_smallILi128EflfPKPfEEvT1_T3_llPT2_llS6_lS5_lPT0_l,@function
_ZN9rocsolver6v33100L18larfg_kernel_smallILi128EflfPKPfEEvT1_T3_llPT2_llS6_lS5_lPT0_l: ; @_ZN9rocsolver6v33100L18larfg_kernel_smallILi128EflfPKPfEEvT1_T3_llPT2_llS6_lS5_lPT0_l
; %bb.0:
	s_clause 0x3
	s_load_b256 s[4:11], s[0:1], 0x20
	s_load_b128 s[16:19], s[0:1], 0x0
	s_load_b64 s[22:23], s[0:1], 0x10
	s_load_b128 s[12:15], s[0:1], 0x40
	s_bfe_u32 s2, ttmp6, 0x40014
	s_lshr_b32 s3, ttmp7, 16
	s_add_co_i32 s2, s2, 1
	s_bfe_u32 s20, ttmp6, 0x40008
	s_mul_i32 s2, s3, s2
	s_getreg_b32 s21, hwreg(HW_REG_IB_STS2, 6, 4)
	s_add_co_i32 s20, s20, s2
	s_cmp_eq_u32 s21, 0
	s_mov_b32 s25, 0
	s_cselect_b32 s24, s3, s20
	s_mov_b64 s[20:21], 0
	s_wait_kmcnt 0x0
	s_cmp_eq_u64 s[4:5], 0
	s_cbranch_scc1 .LBB16_2
; %bb.1:
	s_mul_u64 s[2:3], s[8:9], s[24:25]
	s_delay_alu instid0(SALU_CYCLE_1) | instskip(NEXT) | instid1(SALU_CYCLE_1)
	s_lshl_b64 s[2:3], s[2:3], 2
	s_add_nc_u64 s[2:3], s[4:5], s[2:3]
	s_lshl_b64 s[4:5], s[6:7], 2
	s_delay_alu instid0(SALU_CYCLE_1)
	s_add_nc_u64 s[20:21], s[2:3], s[4:5]
.LBB16_2:
	v_mov_b32_e32 v1, 0
	s_load_b64 s[8:9], s[18:19], s24 offset:0x0 scale_offset
	s_load_b64 s[6:7], s[10:11], s24 offset:0x0 scale_offset
	s_add_nc_u64 s[4:5], s[16:17], -1
	s_delay_alu instid0(VALU_DEP_1)
	v_mul_u64_e32 v[2:3], s[14:15], v[0:1]
	v_cmp_gt_i64_e64 s2, s[4:5], v[0:1]
	v_mov_b32_e32 v8, v1
	s_and_saveexec_b32 s3, s2
	s_cbranch_execz .LBB16_6
; %bb.3:
	s_wait_xcnt 0x0
	s_lshl_b64 s[10:11], s[12:13], 2
	v_mov_b64_e32 v[6:7], v[0:1]
	s_wait_kmcnt 0x0
	s_add_nc_u64 s[10:11], s[6:7], s[10:11]
	v_mov_b32_e32 v8, 0
	v_lshl_add_u64 v[4:5], v[2:3], 2, s[10:11]
	s_lshl_b64 s[10:11], s[14:15], 9
	s_mov_b32 s16, 0
.LBB16_4:                               ; =>This Inner Loop Header: Depth=1
	flat_load_b32 v9, v[4:5]
	v_add_nc_u64_e32 v[6:7], 0x80, v[6:7]
	s_wait_xcnt 0x0
	v_add_nc_u64_e32 v[4:5], s[10:11], v[4:5]
	s_delay_alu instid0(VALU_DEP_2)
	v_cmp_le_i64_e32 vcc_lo, s[4:5], v[6:7]
	s_or_b32 s16, vcc_lo, s16
	s_wait_loadcnt_dscnt 0x0
	v_fmac_f32_e32 v8, v9, v9
	s_and_not1_b32 exec_lo, exec_lo, s16
	s_cbranch_execnz .LBB16_4
; %bb.5:
	s_or_b32 exec_lo, exec_lo, s16
.LBB16_6:
	s_delay_alu instid0(SALU_CYCLE_1) | instskip(SKIP_2) | instid1(VALU_DEP_1)
	s_or_b32 exec_lo, exec_lo, s3
	v_mbcnt_lo_u32_b32 v4, -1, 0
	s_mov_b32 s3, exec_lo
	v_cmp_ne_u32_e32 vcc_lo, 31, v4
	v_add_co_ci_u32_e64 v5, null, 0, v4, vcc_lo
	v_cmp_gt_u32_e32 vcc_lo, 30, v4
	s_delay_alu instid0(VALU_DEP_2)
	v_lshlrev_b32_e32 v5, 2, v5
	v_cndmask_b32_e64 v6, 0, 2, vcc_lo
	v_cmp_gt_u32_e32 vcc_lo, 28, v4
	ds_bpermute_b32 v5, v5, v8
	v_add_lshl_u32 v6, v6, v4, 2
	v_cndmask_b32_e64 v7, 0, 4, vcc_lo
	v_cmp_gt_u32_e32 vcc_lo, 24, v4
	s_delay_alu instid0(VALU_DEP_2)
	v_add_lshl_u32 v7, v7, v4, 2
	s_wait_dscnt 0x0
	v_add_f32_e32 v5, v8, v5
	ds_bpermute_b32 v6, v6, v5
	s_wait_dscnt 0x0
	v_add_f32_e32 v5, v5, v6
	ds_bpermute_b32 v6, v7, v5
	v_cndmask_b32_e64 v7, 0, 8, vcc_lo
	s_delay_alu instid0(VALU_DEP_1)
	v_add_lshl_u32 v7, v7, v4, 2
	v_lshl_or_b32 v4, v4, 2, 64
	s_wait_dscnt 0x0
	v_add_f32_e32 v5, v5, v6
	ds_bpermute_b32 v6, v7, v5
	s_wait_dscnt 0x0
	v_dual_add_f32 v5, v5, v6 :: v_dual_bitop2_b32 v6, 31, v0 bitop3:0x40
	ds_bpermute_b32 v4, v4, v5
	s_wait_dscnt 0x0
	v_add_f32_e32 v4, v5, v4
	v_cmpx_eq_u32_e32 0, v6
; %bb.7:
	v_lshrrev_b32_e32 v5, 3, v0
	ds_store_b32 v5, v4
; %bb.8:
	s_or_b32 exec_lo, exec_lo, s3
	v_cmp_eq_u32_e32 vcc_lo, 0, v0
	s_wait_dscnt 0x0
	s_barrier_signal -1
	s_barrier_wait -1
	s_and_saveexec_b32 s3, vcc_lo
	s_cbranch_execz .LBB16_10
; %bb.9:
	v_mov_b32_e32 v5, 0
	ds_load_2addr_b32 v[6:7], v5 offset0:1 offset1:2
	ds_load_b32 v8, v5 offset:12
	s_wait_dscnt 0x1
	v_add_f32_e32 v4, v4, v6
	s_delay_alu instid0(VALU_DEP_1) | instskip(SKIP_1) | instid1(VALU_DEP_1)
	v_add_f32_e32 v4, v4, v7
	s_wait_dscnt 0x0
	v_add_f32_e32 v4, v4, v8
	ds_store_b32 v5, v4
.LBB16_10:
	s_or_b32 exec_lo, exec_lo, s3
	s_wait_dscnt 0x0
	s_barrier_signal -1
	s_barrier_wait -1
	s_and_saveexec_b32 s3, vcc_lo
	s_cbranch_execz .LBB16_17
; %bb.11:
	v_mov_b32_e32 v6, 0
	s_wait_xcnt 0x0
	s_load_b128 s[16:19], s[0:1], 0x58
	s_wait_xcnt 0x0
	s_lshl_b64 s[0:1], s[22:23], 2
	s_wait_kmcnt 0x0
	s_add_nc_u64 s[8:9], s[8:9], s[0:1]
	ds_load_b32 v5, v6
	s_mov_b32 s0, 0
	s_mul_u64 s[10:11], s[18:19], s[24:25]
	s_delay_alu instid0(SALU_CYCLE_1)
	s_lshl_b64 s[10:11], s[10:11], 2
	s_cmp_eq_u64 s[20:21], 0
	s_wait_dscnt 0x0
	v_cmp_nlt_f32_e32 vcc_lo, 0, v5
	s_cselect_b32 s1, -1, 0
	s_cmp_lg_u64 s[20:21], 0
	s_add_nc_u64 s[10:11], s[16:17], s[10:11]
	s_cselect_b32 s16, -1, 0
	s_cbranch_vccz .LBB16_21
; %bb.12:
	v_mov_b32_e32 v7, 1.0
	s_mov_b32 s18, 0
	s_and_b32 vcc_lo, exec_lo, s16
	s_mov_b32 s17, 0
                                        ; implicit-def: $vgpr4
	global_store_b32 v6, v6, s[10:11]
	ds_store_b32 v6, v7
	s_cbranch_vccnz .LBB16_22
; %bb.13:
	s_and_b32 vcc_lo, exec_lo, s18
	s_cbranch_vccnz .LBB16_23
.LBB16_14:
	s_and_not1_b32 vcc_lo, exec_lo, s17
	s_cbranch_vccz .LBB16_24
.LBB16_15:
	s_and_not1_b32 vcc_lo, exec_lo, s0
	s_cbranch_vccnz .LBB16_17
.LBB16_16:
	s_wait_xcnt 0x0
	v_mov_b32_e32 v5, 0
	s_wait_loadcnt_dscnt 0x0
	flat_store_b32 v5, v4, s[8:9]
.LBB16_17:
	s_wait_xcnt 0x0
	s_or_b32 exec_lo, exec_lo, s3
	s_wait_storecnt 0x0
	s_wait_loadcnt_dscnt 0x0
	s_barrier_signal -1
	s_barrier_wait -1
	s_and_saveexec_b32 s0, s2
	s_cbranch_execz .LBB16_20
; %bb.18:
	v_mov_b32_e32 v4, 0
	s_lshl_b64 s[0:1], s[12:13], 2
	s_mov_b32 s2, 0
	s_wait_kmcnt 0x0
	s_add_nc_u64 s[0:1], s[6:7], s[0:1]
	s_delay_alu instid0(SALU_CYCLE_1)
	v_lshl_add_u64 v[2:3], v[2:3], 2, s[0:1]
	ds_load_b32 v4, v4
	s_lshl_b64 s[0:1], s[14:15], 9
.LBB16_19:                              ; =>This Inner Loop Header: Depth=1
	flat_load_b32 v5, v[2:3]
	v_add_nc_u64_e32 v[0:1], 0x80, v[0:1]
	s_delay_alu instid0(VALU_DEP_1)
	v_cmp_le_i64_e32 vcc_lo, s[4:5], v[0:1]
	s_or_b32 s2, vcc_lo, s2
	s_wait_loadcnt_dscnt 0x0
	v_mul_f32_e32 v5, v4, v5
	flat_store_b32 v[2:3], v5
	s_wait_xcnt 0x0
	v_add_nc_u64_e32 v[2:3], s[0:1], v[2:3]
	s_and_not1_b32 exec_lo, exec_lo, s2
	s_cbranch_execnz .LBB16_19
.LBB16_20:
	s_endpgm
.LBB16_21:
	s_mov_b32 s17, 0
                                        ; implicit-def: $vgpr4
	s_cbranch_execz .LBB16_14
	s_branch .LBB16_23
.LBB16_22:
	v_mov_b32_e32 v4, 0
	s_mov_b32 s17, -1
	flat_load_b32 v4, v4, s[8:9]
	s_and_b32 vcc_lo, exec_lo, s18
	s_cbranch_vccz .LBB16_14
.LBB16_23:
	s_wait_xcnt 0x0
	v_mov_b32_e32 v6, 0
	s_mov_b32 s17, s16
	flat_load_b32 v7, v6, s[8:9]
	s_wait_loadcnt_dscnt 0x0
	v_fmac_f32_e32 v5, v7, v7
	s_delay_alu instid0(VALU_DEP_1) | instskip(SKIP_1) | instid1(VALU_DEP_2)
	v_mul_f32_e32 v4, 0x4f800000, v5
	v_cmp_gt_f32_e32 vcc_lo, 0xf800000, v5
	v_cndmask_b32_e32 v4, v5, v4, vcc_lo
	s_delay_alu instid0(VALU_DEP_1) | instskip(SKIP_1) | instid1(TRANS32_DEP_1)
	v_sqrt_f32_e32 v5, v4
	v_nop
	v_dual_add_nc_u32 v8, -1, v5 :: v_dual_add_nc_u32 v9, 1, v5
	s_delay_alu instid0(VALU_DEP_1) | instskip(NEXT) | instid1(VALU_DEP_1)
	v_dual_fma_f32 v10, -v8, v5, v4 :: v_dual_fma_f32 v11, -v9, v5, v4
	v_cmp_ge_f32_e64 s0, 0, v10
	s_delay_alu instid0(VALU_DEP_1) | instskip(NEXT) | instid1(VALU_DEP_3)
	v_cndmask_b32_e64 v5, v5, v8, s0
	v_cmp_lt_f32_e64 s0, 0, v11
	s_delay_alu instid0(VALU_DEP_1) | instskip(SKIP_1) | instid1(VALU_DEP_1)
	v_cndmask_b32_e64 v5, v5, v9, s0
	s_mov_b32 s0, s1
	v_mul_f32_e32 v8, 0x37800000, v5
	s_delay_alu instid0(VALU_DEP_1) | instskip(SKIP_1) | instid1(VALU_DEP_2)
	v_cndmask_b32_e32 v5, v5, v8, vcc_lo
	v_cmp_class_f32_e64 vcc_lo, v4, 0x260
	v_cndmask_b32_e32 v4, v5, v4, vcc_lo
	v_cmp_le_f32_e32 vcc_lo, 0, v7
	s_delay_alu instid0(VALU_DEP_2) | instskip(NEXT) | instid1(VALU_DEP_1)
	v_cndmask_b32_e64 v4, v4, -v4, vcc_lo
	v_sub_f32_e32 v5, v7, v4
	s_delay_alu instid0(VALU_DEP_1) | instskip(SKIP_1) | instid1(VALU_DEP_2)
	v_div_scale_f32 v7, null, v5, v5, 1.0
	v_div_scale_f32 v10, vcc_lo, 1.0, v5, 1.0
	v_rcp_f32_e32 v8, v7
	v_nop
	s_delay_alu instid0(TRANS32_DEP_1) | instskip(NEXT) | instid1(VALU_DEP_1)
	v_fma_f32 v9, -v7, v8, 1.0
	v_fmac_f32_e32 v8, v9, v8
	s_delay_alu instid0(VALU_DEP_1) | instskip(NEXT) | instid1(VALU_DEP_1)
	v_mul_f32_e32 v9, v10, v8
	v_fma_f32 v11, -v7, v9, v10
	s_delay_alu instid0(VALU_DEP_1) | instskip(NEXT) | instid1(VALU_DEP_1)
	v_fmac_f32_e32 v9, v11, v8
	v_fma_f32 v7, -v7, v9, v10
	s_delay_alu instid0(VALU_DEP_1) | instskip(NEXT) | instid1(VALU_DEP_1)
	v_div_fmas_f32 v7, v7, v8, v9
	v_div_fixup_f32 v5, v7, v5, 1.0
	ds_store_b32 v6, v5
	flat_load_b32 v5, v6, s[8:9]
	s_wait_loadcnt_dscnt 0x0
	v_sub_f32_e32 v5, v4, v5
	s_delay_alu instid0(VALU_DEP_1) | instskip(NEXT) | instid1(VALU_DEP_1)
	v_div_scale_f32 v7, null, v4, v4, v5
	v_rcp_f32_e32 v8, v7
	v_nop
	s_delay_alu instid0(TRANS32_DEP_1) | instskip(NEXT) | instid1(VALU_DEP_1)
	v_fma_f32 v9, -v7, v8, 1.0
	v_fmac_f32_e32 v8, v9, v8
	v_div_scale_f32 v9, vcc_lo, v5, v4, v5
	s_delay_alu instid0(VALU_DEP_1) | instskip(NEXT) | instid1(VALU_DEP_1)
	v_mul_f32_e32 v10, v9, v8
	v_fma_f32 v11, -v7, v10, v9
	s_delay_alu instid0(VALU_DEP_1) | instskip(NEXT) | instid1(VALU_DEP_1)
	v_fmac_f32_e32 v10, v11, v8
	v_fma_f32 v7, -v7, v10, v9
	s_delay_alu instid0(VALU_DEP_1) | instskip(NEXT) | instid1(VALU_DEP_1)
	v_div_fmas_f32 v7, v7, v8, v10
	v_div_fixup_f32 v5, v7, v4, v5
	global_store_b32 v6, v5, s[10:11]
	s_and_not1_b32 vcc_lo, exec_lo, s17
	s_cbranch_vccnz .LBB16_15
.LBB16_24:
	s_wait_xcnt 0x0
	v_mov_b32_e32 v5, 0
	s_wait_loadcnt_dscnt 0x0
	global_store_b32 v5, v4, s[20:21]
	s_wait_xcnt 0x0
	v_mov_b32_e32 v4, 1.0
	s_branch .LBB16_16
	.section	.rodata,"a",@progbits
	.p2align	6, 0x0
	.amdhsa_kernel _ZN9rocsolver6v33100L18larfg_kernel_smallILi128EflfPKPfEEvT1_T3_llPT2_llS6_lS5_lPT0_l
		.amdhsa_group_segment_fixed_size 16
		.amdhsa_private_segment_fixed_size 0
		.amdhsa_kernarg_size 104
		.amdhsa_user_sgpr_count 2
		.amdhsa_user_sgpr_dispatch_ptr 0
		.amdhsa_user_sgpr_queue_ptr 0
		.amdhsa_user_sgpr_kernarg_segment_ptr 1
		.amdhsa_user_sgpr_dispatch_id 0
		.amdhsa_user_sgpr_kernarg_preload_length 0
		.amdhsa_user_sgpr_kernarg_preload_offset 0
		.amdhsa_user_sgpr_private_segment_size 0
		.amdhsa_wavefront_size32 1
		.amdhsa_uses_dynamic_stack 0
		.amdhsa_enable_private_segment 0
		.amdhsa_system_sgpr_workgroup_id_x 1
		.amdhsa_system_sgpr_workgroup_id_y 0
		.amdhsa_system_sgpr_workgroup_id_z 1
		.amdhsa_system_sgpr_workgroup_info 0
		.amdhsa_system_vgpr_workitem_id 0
		.amdhsa_next_free_vgpr 12
		.amdhsa_next_free_sgpr 26
		.amdhsa_named_barrier_count 0
		.amdhsa_reserve_vcc 1
		.amdhsa_float_round_mode_32 0
		.amdhsa_float_round_mode_16_64 0
		.amdhsa_float_denorm_mode_32 3
		.amdhsa_float_denorm_mode_16_64 3
		.amdhsa_fp16_overflow 0
		.amdhsa_memory_ordered 1
		.amdhsa_forward_progress 1
		.amdhsa_inst_pref_size 12
		.amdhsa_round_robin_scheduling 0
		.amdhsa_exception_fp_ieee_invalid_op 0
		.amdhsa_exception_fp_denorm_src 0
		.amdhsa_exception_fp_ieee_div_zero 0
		.amdhsa_exception_fp_ieee_overflow 0
		.amdhsa_exception_fp_ieee_underflow 0
		.amdhsa_exception_fp_ieee_inexact 0
		.amdhsa_exception_int_div_zero 0
	.end_amdhsa_kernel
	.section	.text._ZN9rocsolver6v33100L18larfg_kernel_smallILi128EflfPKPfEEvT1_T3_llPT2_llS6_lS5_lPT0_l,"axG",@progbits,_ZN9rocsolver6v33100L18larfg_kernel_smallILi128EflfPKPfEEvT1_T3_llPT2_llS6_lS5_lPT0_l,comdat
.Lfunc_end16:
	.size	_ZN9rocsolver6v33100L18larfg_kernel_smallILi128EflfPKPfEEvT1_T3_llPT2_llS6_lS5_lPT0_l, .Lfunc_end16-_ZN9rocsolver6v33100L18larfg_kernel_smallILi128EflfPKPfEEvT1_T3_llPT2_llS6_lS5_lPT0_l
                                        ; -- End function
	.set _ZN9rocsolver6v33100L18larfg_kernel_smallILi128EflfPKPfEEvT1_T3_llPT2_llS6_lS5_lPT0_l.num_vgpr, 12
	.set _ZN9rocsolver6v33100L18larfg_kernel_smallILi128EflfPKPfEEvT1_T3_llPT2_llS6_lS5_lPT0_l.num_agpr, 0
	.set _ZN9rocsolver6v33100L18larfg_kernel_smallILi128EflfPKPfEEvT1_T3_llPT2_llS6_lS5_lPT0_l.numbered_sgpr, 26
	.set _ZN9rocsolver6v33100L18larfg_kernel_smallILi128EflfPKPfEEvT1_T3_llPT2_llS6_lS5_lPT0_l.num_named_barrier, 0
	.set _ZN9rocsolver6v33100L18larfg_kernel_smallILi128EflfPKPfEEvT1_T3_llPT2_llS6_lS5_lPT0_l.private_seg_size, 0
	.set _ZN9rocsolver6v33100L18larfg_kernel_smallILi128EflfPKPfEEvT1_T3_llPT2_llS6_lS5_lPT0_l.uses_vcc, 1
	.set _ZN9rocsolver6v33100L18larfg_kernel_smallILi128EflfPKPfEEvT1_T3_llPT2_llS6_lS5_lPT0_l.uses_flat_scratch, 0
	.set _ZN9rocsolver6v33100L18larfg_kernel_smallILi128EflfPKPfEEvT1_T3_llPT2_llS6_lS5_lPT0_l.has_dyn_sized_stack, 0
	.set _ZN9rocsolver6v33100L18larfg_kernel_smallILi128EflfPKPfEEvT1_T3_llPT2_llS6_lS5_lPT0_l.has_recursion, 0
	.set _ZN9rocsolver6v33100L18larfg_kernel_smallILi128EflfPKPfEEvT1_T3_llPT2_llS6_lS5_lPT0_l.has_indirect_call, 0
	.section	.AMDGPU.csdata,"",@progbits
; Kernel info:
; codeLenInByte = 1436
; TotalNumSgprs: 28
; NumVgprs: 12
; ScratchSize: 0
; MemoryBound: 0
; FloatMode: 240
; IeeeMode: 1
; LDSByteSize: 16 bytes/workgroup (compile time only)
; SGPRBlocks: 0
; VGPRBlocks: 0
; NumSGPRsForWavesPerEU: 28
; NumVGPRsForWavesPerEU: 12
; NamedBarCnt: 0
; Occupancy: 16
; WaveLimiterHint : 1
; COMPUTE_PGM_RSRC2:SCRATCH_EN: 0
; COMPUTE_PGM_RSRC2:USER_SGPR: 2
; COMPUTE_PGM_RSRC2:TRAP_HANDLER: 0
; COMPUTE_PGM_RSRC2:TGID_X_EN: 1
; COMPUTE_PGM_RSRC2:TGID_Y_EN: 0
; COMPUTE_PGM_RSRC2:TGID_Z_EN: 1
; COMPUTE_PGM_RSRC2:TIDIG_COMP_CNT: 0
	.section	.text._ZN9rocsolver6v33100L18larfg_kernel_smallILi256EflfPKPfEEvT1_T3_llPT2_llS6_lS5_lPT0_l,"axG",@progbits,_ZN9rocsolver6v33100L18larfg_kernel_smallILi256EflfPKPfEEvT1_T3_llPT2_llS6_lS5_lPT0_l,comdat
	.globl	_ZN9rocsolver6v33100L18larfg_kernel_smallILi256EflfPKPfEEvT1_T3_llPT2_llS6_lS5_lPT0_l ; -- Begin function _ZN9rocsolver6v33100L18larfg_kernel_smallILi256EflfPKPfEEvT1_T3_llPT2_llS6_lS5_lPT0_l
	.p2align	8
	.type	_ZN9rocsolver6v33100L18larfg_kernel_smallILi256EflfPKPfEEvT1_T3_llPT2_llS6_lS5_lPT0_l,@function
_ZN9rocsolver6v33100L18larfg_kernel_smallILi256EflfPKPfEEvT1_T3_llPT2_llS6_lS5_lPT0_l: ; @_ZN9rocsolver6v33100L18larfg_kernel_smallILi256EflfPKPfEEvT1_T3_llPT2_llS6_lS5_lPT0_l
; %bb.0:
	s_clause 0x3
	s_load_b256 s[4:11], s[0:1], 0x20
	s_load_b128 s[16:19], s[0:1], 0x0
	s_load_b64 s[22:23], s[0:1], 0x10
	s_load_b128 s[12:15], s[0:1], 0x40
	s_bfe_u32 s2, ttmp6, 0x40014
	s_lshr_b32 s3, ttmp7, 16
	s_add_co_i32 s2, s2, 1
	s_bfe_u32 s20, ttmp6, 0x40008
	s_mul_i32 s2, s3, s2
	s_getreg_b32 s21, hwreg(HW_REG_IB_STS2, 6, 4)
	s_add_co_i32 s20, s20, s2
	s_cmp_eq_u32 s21, 0
	s_mov_b32 s25, 0
	s_cselect_b32 s24, s3, s20
	s_mov_b64 s[20:21], 0
	s_wait_kmcnt 0x0
	s_cmp_eq_u64 s[4:5], 0
	s_cbranch_scc1 .LBB17_2
; %bb.1:
	s_mul_u64 s[2:3], s[8:9], s[24:25]
	s_delay_alu instid0(SALU_CYCLE_1) | instskip(NEXT) | instid1(SALU_CYCLE_1)
	s_lshl_b64 s[2:3], s[2:3], 2
	s_add_nc_u64 s[2:3], s[4:5], s[2:3]
	s_lshl_b64 s[4:5], s[6:7], 2
	s_delay_alu instid0(SALU_CYCLE_1)
	s_add_nc_u64 s[20:21], s[2:3], s[4:5]
.LBB17_2:
	v_mov_b32_e32 v1, 0
	s_load_b64 s[8:9], s[18:19], s24 offset:0x0 scale_offset
	s_load_b64 s[6:7], s[10:11], s24 offset:0x0 scale_offset
	s_add_nc_u64 s[4:5], s[16:17], -1
	s_delay_alu instid0(VALU_DEP_1)
	v_mul_u64_e32 v[2:3], s[14:15], v[0:1]
	v_cmp_gt_i64_e64 s2, s[4:5], v[0:1]
	v_mov_b32_e32 v8, v1
	s_and_saveexec_b32 s3, s2
	s_cbranch_execz .LBB17_6
; %bb.3:
	s_wait_xcnt 0x0
	s_lshl_b64 s[10:11], s[12:13], 2
	v_mov_b64_e32 v[6:7], v[0:1]
	s_wait_kmcnt 0x0
	s_add_nc_u64 s[10:11], s[6:7], s[10:11]
	v_mov_b32_e32 v8, 0
	v_lshl_add_u64 v[4:5], v[2:3], 2, s[10:11]
	s_lshl_b64 s[10:11], s[14:15], 10
	s_mov_b32 s16, 0
.LBB17_4:                               ; =>This Inner Loop Header: Depth=1
	flat_load_b32 v9, v[4:5]
	v_add_nc_u64_e32 v[6:7], 0x100, v[6:7]
	s_wait_xcnt 0x0
	v_add_nc_u64_e32 v[4:5], s[10:11], v[4:5]
	s_delay_alu instid0(VALU_DEP_2)
	v_cmp_le_i64_e32 vcc_lo, s[4:5], v[6:7]
	s_or_b32 s16, vcc_lo, s16
	s_wait_loadcnt_dscnt 0x0
	v_fmac_f32_e32 v8, v9, v9
	s_and_not1_b32 exec_lo, exec_lo, s16
	s_cbranch_execnz .LBB17_4
; %bb.5:
	s_or_b32 exec_lo, exec_lo, s16
.LBB17_6:
	s_delay_alu instid0(SALU_CYCLE_1) | instskip(SKIP_2) | instid1(VALU_DEP_1)
	s_or_b32 exec_lo, exec_lo, s3
	v_mbcnt_lo_u32_b32 v4, -1, 0
	s_mov_b32 s3, exec_lo
	v_cmp_ne_u32_e32 vcc_lo, 31, v4
	v_add_co_ci_u32_e64 v5, null, 0, v4, vcc_lo
	v_cmp_gt_u32_e32 vcc_lo, 30, v4
	s_delay_alu instid0(VALU_DEP_2)
	v_lshlrev_b32_e32 v5, 2, v5
	v_cndmask_b32_e64 v6, 0, 2, vcc_lo
	v_cmp_gt_u32_e32 vcc_lo, 28, v4
	ds_bpermute_b32 v5, v5, v8
	v_add_lshl_u32 v6, v6, v4, 2
	v_cndmask_b32_e64 v7, 0, 4, vcc_lo
	v_cmp_gt_u32_e32 vcc_lo, 24, v4
	s_delay_alu instid0(VALU_DEP_2)
	v_add_lshl_u32 v7, v7, v4, 2
	s_wait_dscnt 0x0
	v_add_f32_e32 v5, v8, v5
	ds_bpermute_b32 v6, v6, v5
	s_wait_dscnt 0x0
	v_add_f32_e32 v5, v5, v6
	ds_bpermute_b32 v6, v7, v5
	v_cndmask_b32_e64 v7, 0, 8, vcc_lo
	s_delay_alu instid0(VALU_DEP_1)
	v_add_lshl_u32 v7, v7, v4, 2
	v_lshl_or_b32 v4, v4, 2, 64
	s_wait_dscnt 0x0
	v_add_f32_e32 v5, v5, v6
	ds_bpermute_b32 v6, v7, v5
	s_wait_dscnt 0x0
	v_dual_add_f32 v5, v5, v6 :: v_dual_bitop2_b32 v6, 31, v0 bitop3:0x40
	ds_bpermute_b32 v4, v4, v5
	s_wait_dscnt 0x0
	v_add_f32_e32 v4, v5, v4
	v_cmpx_eq_u32_e32 0, v6
; %bb.7:
	v_lshrrev_b32_e32 v5, 3, v0
	ds_store_b32 v5, v4
; %bb.8:
	s_or_b32 exec_lo, exec_lo, s3
	v_cmp_eq_u32_e32 vcc_lo, 0, v0
	s_wait_dscnt 0x0
	s_barrier_signal -1
	s_barrier_wait -1
	s_and_saveexec_b32 s3, vcc_lo
	s_cbranch_execz .LBB17_10
; %bb.9:
	v_mov_b32_e32 v5, 0
	ds_load_2addr_b32 v[6:7], v5 offset0:1 offset1:2
	ds_load_2addr_b32 v[8:9], v5 offset0:3 offset1:4
	;; [unrolled: 1-line block ×3, first 2 shown]
	ds_load_b32 v12, v5 offset:28
	s_wait_dscnt 0x3
	v_add_f32_e32 v4, v4, v6
	s_delay_alu instid0(VALU_DEP_1) | instskip(SKIP_1) | instid1(VALU_DEP_1)
	v_add_f32_e32 v4, v4, v7
	s_wait_dscnt 0x2
	v_add_f32_e32 v4, v4, v8
	s_delay_alu instid0(VALU_DEP_1) | instskip(SKIP_1) | instid1(VALU_DEP_1)
	v_add_f32_e32 v4, v4, v9
	;; [unrolled: 4-line block ×3, first 2 shown]
	s_wait_dscnt 0x0
	v_add_f32_e32 v4, v4, v12
	ds_store_b32 v5, v4
.LBB17_10:
	s_or_b32 exec_lo, exec_lo, s3
	s_wait_dscnt 0x0
	s_barrier_signal -1
	s_barrier_wait -1
	s_and_saveexec_b32 s3, vcc_lo
	s_cbranch_execz .LBB17_17
; %bb.11:
	v_mov_b32_e32 v6, 0
	s_wait_xcnt 0x0
	s_load_b128 s[16:19], s[0:1], 0x58
	s_wait_xcnt 0x0
	s_lshl_b64 s[0:1], s[22:23], 2
	s_wait_kmcnt 0x0
	s_add_nc_u64 s[8:9], s[8:9], s[0:1]
	ds_load_b32 v5, v6
	s_mov_b32 s0, 0
	s_mul_u64 s[10:11], s[18:19], s[24:25]
	s_delay_alu instid0(SALU_CYCLE_1)
	s_lshl_b64 s[10:11], s[10:11], 2
	s_cmp_eq_u64 s[20:21], 0
	s_wait_dscnt 0x0
	v_cmp_nlt_f32_e32 vcc_lo, 0, v5
	s_cselect_b32 s1, -1, 0
	s_cmp_lg_u64 s[20:21], 0
	s_add_nc_u64 s[10:11], s[16:17], s[10:11]
	s_cselect_b32 s16, -1, 0
	s_cbranch_vccz .LBB17_21
; %bb.12:
	v_mov_b32_e32 v7, 1.0
	s_mov_b32 s18, 0
	s_and_b32 vcc_lo, exec_lo, s16
	s_mov_b32 s17, 0
                                        ; implicit-def: $vgpr4
	global_store_b32 v6, v6, s[10:11]
	ds_store_b32 v6, v7
	s_cbranch_vccnz .LBB17_22
; %bb.13:
	s_and_b32 vcc_lo, exec_lo, s18
	s_cbranch_vccnz .LBB17_23
.LBB17_14:
	s_and_not1_b32 vcc_lo, exec_lo, s17
	s_cbranch_vccz .LBB17_24
.LBB17_15:
	s_and_not1_b32 vcc_lo, exec_lo, s0
	s_cbranch_vccnz .LBB17_17
.LBB17_16:
	s_wait_xcnt 0x0
	v_mov_b32_e32 v5, 0
	s_wait_loadcnt_dscnt 0x0
	flat_store_b32 v5, v4, s[8:9]
.LBB17_17:
	s_wait_xcnt 0x0
	s_or_b32 exec_lo, exec_lo, s3
	s_wait_storecnt 0x0
	s_wait_loadcnt_dscnt 0x0
	s_barrier_signal -1
	s_barrier_wait -1
	s_and_saveexec_b32 s0, s2
	s_cbranch_execz .LBB17_20
; %bb.18:
	v_mov_b32_e32 v4, 0
	s_lshl_b64 s[0:1], s[12:13], 2
	s_mov_b32 s2, 0
	s_wait_kmcnt 0x0
	s_add_nc_u64 s[0:1], s[6:7], s[0:1]
	s_delay_alu instid0(SALU_CYCLE_1)
	v_lshl_add_u64 v[2:3], v[2:3], 2, s[0:1]
	ds_load_b32 v4, v4
	s_lshl_b64 s[0:1], s[14:15], 10
.LBB17_19:                              ; =>This Inner Loop Header: Depth=1
	flat_load_b32 v5, v[2:3]
	v_add_nc_u64_e32 v[0:1], 0x100, v[0:1]
	s_delay_alu instid0(VALU_DEP_1)
	v_cmp_le_i64_e32 vcc_lo, s[4:5], v[0:1]
	s_or_b32 s2, vcc_lo, s2
	s_wait_loadcnt_dscnt 0x0
	v_mul_f32_e32 v5, v4, v5
	flat_store_b32 v[2:3], v5
	s_wait_xcnt 0x0
	v_add_nc_u64_e32 v[2:3], s[0:1], v[2:3]
	s_and_not1_b32 exec_lo, exec_lo, s2
	s_cbranch_execnz .LBB17_19
.LBB17_20:
	s_endpgm
.LBB17_21:
	s_mov_b32 s17, 0
                                        ; implicit-def: $vgpr4
	s_cbranch_execz .LBB17_14
	s_branch .LBB17_23
.LBB17_22:
	v_mov_b32_e32 v4, 0
	s_mov_b32 s17, -1
	flat_load_b32 v4, v4, s[8:9]
	s_and_b32 vcc_lo, exec_lo, s18
	s_cbranch_vccz .LBB17_14
.LBB17_23:
	s_wait_xcnt 0x0
	v_mov_b32_e32 v6, 0
	s_mov_b32 s17, s16
	flat_load_b32 v7, v6, s[8:9]
	s_wait_loadcnt_dscnt 0x0
	v_fmac_f32_e32 v5, v7, v7
	s_delay_alu instid0(VALU_DEP_1) | instskip(SKIP_1) | instid1(VALU_DEP_2)
	v_mul_f32_e32 v4, 0x4f800000, v5
	v_cmp_gt_f32_e32 vcc_lo, 0xf800000, v5
	v_cndmask_b32_e32 v4, v5, v4, vcc_lo
	s_delay_alu instid0(VALU_DEP_1) | instskip(SKIP_1) | instid1(TRANS32_DEP_1)
	v_sqrt_f32_e32 v5, v4
	v_nop
	v_dual_add_nc_u32 v8, -1, v5 :: v_dual_add_nc_u32 v9, 1, v5
	s_delay_alu instid0(VALU_DEP_1) | instskip(NEXT) | instid1(VALU_DEP_1)
	v_dual_fma_f32 v10, -v8, v5, v4 :: v_dual_fma_f32 v11, -v9, v5, v4
	v_cmp_ge_f32_e64 s0, 0, v10
	s_delay_alu instid0(VALU_DEP_1) | instskip(NEXT) | instid1(VALU_DEP_3)
	v_cndmask_b32_e64 v5, v5, v8, s0
	v_cmp_lt_f32_e64 s0, 0, v11
	s_delay_alu instid0(VALU_DEP_1) | instskip(SKIP_1) | instid1(VALU_DEP_1)
	v_cndmask_b32_e64 v5, v5, v9, s0
	s_mov_b32 s0, s1
	v_mul_f32_e32 v8, 0x37800000, v5
	s_delay_alu instid0(VALU_DEP_1) | instskip(SKIP_1) | instid1(VALU_DEP_2)
	v_cndmask_b32_e32 v5, v5, v8, vcc_lo
	v_cmp_class_f32_e64 vcc_lo, v4, 0x260
	v_cndmask_b32_e32 v4, v5, v4, vcc_lo
	v_cmp_le_f32_e32 vcc_lo, 0, v7
	s_delay_alu instid0(VALU_DEP_2) | instskip(NEXT) | instid1(VALU_DEP_1)
	v_cndmask_b32_e64 v4, v4, -v4, vcc_lo
	v_sub_f32_e32 v5, v7, v4
	s_delay_alu instid0(VALU_DEP_1) | instskip(SKIP_1) | instid1(VALU_DEP_2)
	v_div_scale_f32 v7, null, v5, v5, 1.0
	v_div_scale_f32 v10, vcc_lo, 1.0, v5, 1.0
	v_rcp_f32_e32 v8, v7
	v_nop
	s_delay_alu instid0(TRANS32_DEP_1) | instskip(NEXT) | instid1(VALU_DEP_1)
	v_fma_f32 v9, -v7, v8, 1.0
	v_fmac_f32_e32 v8, v9, v8
	s_delay_alu instid0(VALU_DEP_1) | instskip(NEXT) | instid1(VALU_DEP_1)
	v_mul_f32_e32 v9, v10, v8
	v_fma_f32 v11, -v7, v9, v10
	s_delay_alu instid0(VALU_DEP_1) | instskip(NEXT) | instid1(VALU_DEP_1)
	v_fmac_f32_e32 v9, v11, v8
	v_fma_f32 v7, -v7, v9, v10
	s_delay_alu instid0(VALU_DEP_1) | instskip(NEXT) | instid1(VALU_DEP_1)
	v_div_fmas_f32 v7, v7, v8, v9
	v_div_fixup_f32 v5, v7, v5, 1.0
	ds_store_b32 v6, v5
	flat_load_b32 v5, v6, s[8:9]
	s_wait_loadcnt_dscnt 0x0
	v_sub_f32_e32 v5, v4, v5
	s_delay_alu instid0(VALU_DEP_1) | instskip(NEXT) | instid1(VALU_DEP_1)
	v_div_scale_f32 v7, null, v4, v4, v5
	v_rcp_f32_e32 v8, v7
	v_nop
	s_delay_alu instid0(TRANS32_DEP_1) | instskip(NEXT) | instid1(VALU_DEP_1)
	v_fma_f32 v9, -v7, v8, 1.0
	v_fmac_f32_e32 v8, v9, v8
	v_div_scale_f32 v9, vcc_lo, v5, v4, v5
	s_delay_alu instid0(VALU_DEP_1) | instskip(NEXT) | instid1(VALU_DEP_1)
	v_mul_f32_e32 v10, v9, v8
	v_fma_f32 v11, -v7, v10, v9
	s_delay_alu instid0(VALU_DEP_1) | instskip(NEXT) | instid1(VALU_DEP_1)
	v_fmac_f32_e32 v10, v11, v8
	v_fma_f32 v7, -v7, v10, v9
	s_delay_alu instid0(VALU_DEP_1) | instskip(NEXT) | instid1(VALU_DEP_1)
	v_div_fmas_f32 v7, v7, v8, v10
	v_div_fixup_f32 v5, v7, v4, v5
	global_store_b32 v6, v5, s[10:11]
	s_and_not1_b32 vcc_lo, exec_lo, s17
	s_cbranch_vccnz .LBB17_15
.LBB17_24:
	s_wait_xcnt 0x0
	v_mov_b32_e32 v5, 0
	s_wait_loadcnt_dscnt 0x0
	global_store_b32 v5, v4, s[20:21]
	s_wait_xcnt 0x0
	v_mov_b32_e32 v4, 1.0
	s_branch .LBB17_16
	.section	.rodata,"a",@progbits
	.p2align	6, 0x0
	.amdhsa_kernel _ZN9rocsolver6v33100L18larfg_kernel_smallILi256EflfPKPfEEvT1_T3_llPT2_llS6_lS5_lPT0_l
		.amdhsa_group_segment_fixed_size 32
		.amdhsa_private_segment_fixed_size 0
		.amdhsa_kernarg_size 104
		.amdhsa_user_sgpr_count 2
		.amdhsa_user_sgpr_dispatch_ptr 0
		.amdhsa_user_sgpr_queue_ptr 0
		.amdhsa_user_sgpr_kernarg_segment_ptr 1
		.amdhsa_user_sgpr_dispatch_id 0
		.amdhsa_user_sgpr_kernarg_preload_length 0
		.amdhsa_user_sgpr_kernarg_preload_offset 0
		.amdhsa_user_sgpr_private_segment_size 0
		.amdhsa_wavefront_size32 1
		.amdhsa_uses_dynamic_stack 0
		.amdhsa_enable_private_segment 0
		.amdhsa_system_sgpr_workgroup_id_x 1
		.amdhsa_system_sgpr_workgroup_id_y 0
		.amdhsa_system_sgpr_workgroup_id_z 1
		.amdhsa_system_sgpr_workgroup_info 0
		.amdhsa_system_vgpr_workitem_id 0
		.amdhsa_next_free_vgpr 13
		.amdhsa_next_free_sgpr 26
		.amdhsa_named_barrier_count 0
		.amdhsa_reserve_vcc 1
		.amdhsa_float_round_mode_32 0
		.amdhsa_float_round_mode_16_64 0
		.amdhsa_float_denorm_mode_32 3
		.amdhsa_float_denorm_mode_16_64 3
		.amdhsa_fp16_overflow 0
		.amdhsa_memory_ordered 1
		.amdhsa_forward_progress 1
		.amdhsa_inst_pref_size 12
		.amdhsa_round_robin_scheduling 0
		.amdhsa_exception_fp_ieee_invalid_op 0
		.amdhsa_exception_fp_denorm_src 0
		.amdhsa_exception_fp_ieee_div_zero 0
		.amdhsa_exception_fp_ieee_overflow 0
		.amdhsa_exception_fp_ieee_underflow 0
		.amdhsa_exception_fp_ieee_inexact 0
		.amdhsa_exception_int_div_zero 0
	.end_amdhsa_kernel
	.section	.text._ZN9rocsolver6v33100L18larfg_kernel_smallILi256EflfPKPfEEvT1_T3_llPT2_llS6_lS5_lPT0_l,"axG",@progbits,_ZN9rocsolver6v33100L18larfg_kernel_smallILi256EflfPKPfEEvT1_T3_llPT2_llS6_lS5_lPT0_l,comdat
.Lfunc_end17:
	.size	_ZN9rocsolver6v33100L18larfg_kernel_smallILi256EflfPKPfEEvT1_T3_llPT2_llS6_lS5_lPT0_l, .Lfunc_end17-_ZN9rocsolver6v33100L18larfg_kernel_smallILi256EflfPKPfEEvT1_T3_llPT2_llS6_lS5_lPT0_l
                                        ; -- End function
	.set _ZN9rocsolver6v33100L18larfg_kernel_smallILi256EflfPKPfEEvT1_T3_llPT2_llS6_lS5_lPT0_l.num_vgpr, 13
	.set _ZN9rocsolver6v33100L18larfg_kernel_smallILi256EflfPKPfEEvT1_T3_llPT2_llS6_lS5_lPT0_l.num_agpr, 0
	.set _ZN9rocsolver6v33100L18larfg_kernel_smallILi256EflfPKPfEEvT1_T3_llPT2_llS6_lS5_lPT0_l.numbered_sgpr, 26
	.set _ZN9rocsolver6v33100L18larfg_kernel_smallILi256EflfPKPfEEvT1_T3_llPT2_llS6_lS5_lPT0_l.num_named_barrier, 0
	.set _ZN9rocsolver6v33100L18larfg_kernel_smallILi256EflfPKPfEEvT1_T3_llPT2_llS6_lS5_lPT0_l.private_seg_size, 0
	.set _ZN9rocsolver6v33100L18larfg_kernel_smallILi256EflfPKPfEEvT1_T3_llPT2_llS6_lS5_lPT0_l.uses_vcc, 1
	.set _ZN9rocsolver6v33100L18larfg_kernel_smallILi256EflfPKPfEEvT1_T3_llPT2_llS6_lS5_lPT0_l.uses_flat_scratch, 0
	.set _ZN9rocsolver6v33100L18larfg_kernel_smallILi256EflfPKPfEEvT1_T3_llPT2_llS6_lS5_lPT0_l.has_dyn_sized_stack, 0
	.set _ZN9rocsolver6v33100L18larfg_kernel_smallILi256EflfPKPfEEvT1_T3_llPT2_llS6_lS5_lPT0_l.has_recursion, 0
	.set _ZN9rocsolver6v33100L18larfg_kernel_smallILi256EflfPKPfEEvT1_T3_llPT2_llS6_lS5_lPT0_l.has_indirect_call, 0
	.section	.AMDGPU.csdata,"",@progbits
; Kernel info:
; codeLenInByte = 1484
; TotalNumSgprs: 28
; NumVgprs: 13
; ScratchSize: 0
; MemoryBound: 0
; FloatMode: 240
; IeeeMode: 1
; LDSByteSize: 32 bytes/workgroup (compile time only)
; SGPRBlocks: 0
; VGPRBlocks: 0
; NumSGPRsForWavesPerEU: 28
; NumVGPRsForWavesPerEU: 13
; NamedBarCnt: 0
; Occupancy: 16
; WaveLimiterHint : 1
; COMPUTE_PGM_RSRC2:SCRATCH_EN: 0
; COMPUTE_PGM_RSRC2:USER_SGPR: 2
; COMPUTE_PGM_RSRC2:TRAP_HANDLER: 0
; COMPUTE_PGM_RSRC2:TGID_X_EN: 1
; COMPUTE_PGM_RSRC2:TGID_Y_EN: 0
; COMPUTE_PGM_RSRC2:TGID_Z_EN: 1
; COMPUTE_PGM_RSRC2:TIDIG_COMP_CNT: 0
	.section	.text._ZN9rocsolver6v33100L18larfg_kernel_smallILi512EflfPKPfEEvT1_T3_llPT2_llS6_lS5_lPT0_l,"axG",@progbits,_ZN9rocsolver6v33100L18larfg_kernel_smallILi512EflfPKPfEEvT1_T3_llPT2_llS6_lS5_lPT0_l,comdat
	.globl	_ZN9rocsolver6v33100L18larfg_kernel_smallILi512EflfPKPfEEvT1_T3_llPT2_llS6_lS5_lPT0_l ; -- Begin function _ZN9rocsolver6v33100L18larfg_kernel_smallILi512EflfPKPfEEvT1_T3_llPT2_llS6_lS5_lPT0_l
	.p2align	8
	.type	_ZN9rocsolver6v33100L18larfg_kernel_smallILi512EflfPKPfEEvT1_T3_llPT2_llS6_lS5_lPT0_l,@function
_ZN9rocsolver6v33100L18larfg_kernel_smallILi512EflfPKPfEEvT1_T3_llPT2_llS6_lS5_lPT0_l: ; @_ZN9rocsolver6v33100L18larfg_kernel_smallILi512EflfPKPfEEvT1_T3_llPT2_llS6_lS5_lPT0_l
; %bb.0:
	s_clause 0x3
	s_load_b256 s[4:11], s[0:1], 0x20
	s_load_b128 s[16:19], s[0:1], 0x0
	s_load_b64 s[22:23], s[0:1], 0x10
	s_load_b128 s[12:15], s[0:1], 0x40
	s_bfe_u32 s2, ttmp6, 0x40014
	s_lshr_b32 s3, ttmp7, 16
	s_add_co_i32 s2, s2, 1
	s_bfe_u32 s20, ttmp6, 0x40008
	s_mul_i32 s2, s3, s2
	s_getreg_b32 s21, hwreg(HW_REG_IB_STS2, 6, 4)
	s_add_co_i32 s20, s20, s2
	s_cmp_eq_u32 s21, 0
	s_mov_b32 s25, 0
	s_cselect_b32 s24, s3, s20
	s_mov_b64 s[20:21], 0
	s_wait_kmcnt 0x0
	s_cmp_eq_u64 s[4:5], 0
	s_cbranch_scc1 .LBB18_2
; %bb.1:
	s_mul_u64 s[2:3], s[8:9], s[24:25]
	s_delay_alu instid0(SALU_CYCLE_1) | instskip(NEXT) | instid1(SALU_CYCLE_1)
	s_lshl_b64 s[2:3], s[2:3], 2
	s_add_nc_u64 s[2:3], s[4:5], s[2:3]
	s_lshl_b64 s[4:5], s[6:7], 2
	s_delay_alu instid0(SALU_CYCLE_1)
	s_add_nc_u64 s[20:21], s[2:3], s[4:5]
.LBB18_2:
	v_mov_b32_e32 v1, 0
	s_load_b64 s[8:9], s[18:19], s24 offset:0x0 scale_offset
	s_load_b64 s[6:7], s[10:11], s24 offset:0x0 scale_offset
	s_add_nc_u64 s[4:5], s[16:17], -1
	s_delay_alu instid0(VALU_DEP_1)
	v_mul_u64_e32 v[2:3], s[14:15], v[0:1]
	v_cmp_gt_i64_e64 s2, s[4:5], v[0:1]
	v_mov_b32_e32 v8, v1
	s_and_saveexec_b32 s3, s2
	s_cbranch_execz .LBB18_6
; %bb.3:
	s_wait_xcnt 0x0
	s_lshl_b64 s[10:11], s[12:13], 2
	v_mov_b64_e32 v[6:7], v[0:1]
	s_wait_kmcnt 0x0
	s_add_nc_u64 s[10:11], s[6:7], s[10:11]
	v_mov_b32_e32 v8, 0
	v_lshl_add_u64 v[4:5], v[2:3], 2, s[10:11]
	s_lshl_b64 s[10:11], s[14:15], 11
	s_mov_b32 s16, 0
.LBB18_4:                               ; =>This Inner Loop Header: Depth=1
	flat_load_b32 v9, v[4:5]
	v_add_nc_u64_e32 v[6:7], 0x200, v[6:7]
	s_wait_xcnt 0x0
	v_add_nc_u64_e32 v[4:5], s[10:11], v[4:5]
	s_delay_alu instid0(VALU_DEP_2)
	v_cmp_le_i64_e32 vcc_lo, s[4:5], v[6:7]
	s_or_b32 s16, vcc_lo, s16
	s_wait_loadcnt_dscnt 0x0
	v_fmac_f32_e32 v8, v9, v9
	s_and_not1_b32 exec_lo, exec_lo, s16
	s_cbranch_execnz .LBB18_4
; %bb.5:
	s_or_b32 exec_lo, exec_lo, s16
.LBB18_6:
	s_delay_alu instid0(SALU_CYCLE_1) | instskip(SKIP_2) | instid1(VALU_DEP_1)
	s_or_b32 exec_lo, exec_lo, s3
	v_mbcnt_lo_u32_b32 v4, -1, 0
	s_mov_b32 s3, exec_lo
	v_cmp_ne_u32_e32 vcc_lo, 31, v4
	v_add_co_ci_u32_e64 v5, null, 0, v4, vcc_lo
	v_cmp_gt_u32_e32 vcc_lo, 30, v4
	s_delay_alu instid0(VALU_DEP_2)
	v_lshlrev_b32_e32 v5, 2, v5
	v_cndmask_b32_e64 v6, 0, 2, vcc_lo
	v_cmp_gt_u32_e32 vcc_lo, 28, v4
	ds_bpermute_b32 v5, v5, v8
	v_add_lshl_u32 v6, v6, v4, 2
	v_cndmask_b32_e64 v7, 0, 4, vcc_lo
	v_cmp_gt_u32_e32 vcc_lo, 24, v4
	s_delay_alu instid0(VALU_DEP_2)
	v_add_lshl_u32 v7, v7, v4, 2
	s_wait_dscnt 0x0
	v_add_f32_e32 v5, v8, v5
	ds_bpermute_b32 v6, v6, v5
	s_wait_dscnt 0x0
	v_add_f32_e32 v5, v5, v6
	ds_bpermute_b32 v6, v7, v5
	v_cndmask_b32_e64 v7, 0, 8, vcc_lo
	s_delay_alu instid0(VALU_DEP_1)
	v_add_lshl_u32 v7, v7, v4, 2
	v_lshl_or_b32 v4, v4, 2, 64
	s_wait_dscnt 0x0
	v_add_f32_e32 v5, v5, v6
	ds_bpermute_b32 v6, v7, v5
	s_wait_dscnt 0x0
	v_dual_add_f32 v5, v5, v6 :: v_dual_bitop2_b32 v6, 31, v0 bitop3:0x40
	ds_bpermute_b32 v4, v4, v5
	s_wait_dscnt 0x0
	v_add_f32_e32 v4, v5, v4
	v_cmpx_eq_u32_e32 0, v6
; %bb.7:
	v_lshrrev_b32_e32 v5, 3, v0
	ds_store_b32 v5, v4
; %bb.8:
	s_or_b32 exec_lo, exec_lo, s3
	v_cmp_eq_u32_e32 vcc_lo, 0, v0
	s_wait_dscnt 0x0
	s_barrier_signal -1
	s_barrier_wait -1
	s_and_saveexec_b32 s3, vcc_lo
	s_cbranch_execz .LBB18_10
; %bb.9:
	v_mov_b32_e32 v14, 0
	ds_load_2addr_b32 v[6:7], v14 offset0:1 offset1:2
	ds_load_2addr_b32 v[8:9], v14 offset0:3 offset1:4
	;; [unrolled: 1-line block ×4, first 2 shown]
	s_wait_dscnt 0x3
	v_add_f32_e32 v4, v4, v6
	s_delay_alu instid0(VALU_DEP_1) | instskip(SKIP_1) | instid1(VALU_DEP_1)
	v_add_f32_e32 v4, v4, v7
	s_wait_dscnt 0x2
	v_add_f32_e32 v4, v4, v8
	s_delay_alu instid0(VALU_DEP_1) | instskip(SKIP_1) | instid1(VALU_DEP_1)
	v_add_f32_e32 v4, v4, v9
	s_wait_dscnt 0x1
	v_add_f32_e32 v6, v4, v10
	ds_load_2addr_b32 v[4:5], v14 offset0:9 offset1:10
	v_add_f32_e32 v6, v6, v11
	s_wait_dscnt 0x1
	s_delay_alu instid0(VALU_DEP_1)
	v_add_f32_e32 v8, v6, v12
	ds_load_2addr_b32 v[6:7], v14 offset0:11 offset1:12
	v_add_f32_e32 v10, v8, v13
	ds_load_2addr_b32 v[8:9], v14 offset0:13 offset1:14
	ds_load_b32 v11, v14 offset:60
	s_wait_dscnt 0x3
	v_add_f32_e32 v4, v10, v4
	s_delay_alu instid0(VALU_DEP_1) | instskip(SKIP_1) | instid1(VALU_DEP_1)
	v_add_f32_e32 v4, v4, v5
	s_wait_dscnt 0x2
	v_add_f32_e32 v4, v4, v6
	s_delay_alu instid0(VALU_DEP_1) | instskip(SKIP_1) | instid1(VALU_DEP_1)
	v_add_f32_e32 v4, v4, v7
	;; [unrolled: 4-line block ×3, first 2 shown]
	s_wait_dscnt 0x0
	v_add_f32_e32 v4, v4, v11
	ds_store_b32 v14, v4
.LBB18_10:
	s_or_b32 exec_lo, exec_lo, s3
	s_wait_dscnt 0x0
	s_barrier_signal -1
	s_barrier_wait -1
	s_and_saveexec_b32 s3, vcc_lo
	s_cbranch_execz .LBB18_17
; %bb.11:
	v_mov_b32_e32 v6, 0
	s_wait_xcnt 0x0
	s_load_b128 s[16:19], s[0:1], 0x58
	s_wait_xcnt 0x0
	s_lshl_b64 s[0:1], s[22:23], 2
	s_wait_kmcnt 0x0
	s_add_nc_u64 s[8:9], s[8:9], s[0:1]
	ds_load_b32 v5, v6
	s_mov_b32 s0, 0
	s_mul_u64 s[10:11], s[18:19], s[24:25]
	s_delay_alu instid0(SALU_CYCLE_1)
	s_lshl_b64 s[10:11], s[10:11], 2
	s_cmp_eq_u64 s[20:21], 0
	s_wait_dscnt 0x0
	v_cmp_nlt_f32_e32 vcc_lo, 0, v5
	s_cselect_b32 s1, -1, 0
	s_cmp_lg_u64 s[20:21], 0
	s_add_nc_u64 s[10:11], s[16:17], s[10:11]
	s_cselect_b32 s16, -1, 0
	s_cbranch_vccz .LBB18_21
; %bb.12:
	v_mov_b32_e32 v7, 1.0
	s_mov_b32 s18, 0
	s_and_b32 vcc_lo, exec_lo, s16
	s_mov_b32 s17, 0
                                        ; implicit-def: $vgpr4
	global_store_b32 v6, v6, s[10:11]
	ds_store_b32 v6, v7
	s_cbranch_vccnz .LBB18_22
; %bb.13:
	s_and_b32 vcc_lo, exec_lo, s18
	s_cbranch_vccnz .LBB18_23
.LBB18_14:
	s_and_not1_b32 vcc_lo, exec_lo, s17
	s_cbranch_vccz .LBB18_24
.LBB18_15:
	s_and_not1_b32 vcc_lo, exec_lo, s0
	s_cbranch_vccnz .LBB18_17
.LBB18_16:
	s_wait_xcnt 0x0
	v_mov_b32_e32 v5, 0
	s_wait_loadcnt_dscnt 0x0
	flat_store_b32 v5, v4, s[8:9]
.LBB18_17:
	s_wait_xcnt 0x0
	s_or_b32 exec_lo, exec_lo, s3
	s_wait_storecnt 0x0
	s_wait_loadcnt_dscnt 0x0
	s_barrier_signal -1
	s_barrier_wait -1
	s_and_saveexec_b32 s0, s2
	s_cbranch_execz .LBB18_20
; %bb.18:
	v_mov_b32_e32 v4, 0
	s_lshl_b64 s[0:1], s[12:13], 2
	s_mov_b32 s2, 0
	s_wait_kmcnt 0x0
	s_add_nc_u64 s[0:1], s[6:7], s[0:1]
	s_delay_alu instid0(SALU_CYCLE_1)
	v_lshl_add_u64 v[2:3], v[2:3], 2, s[0:1]
	ds_load_b32 v4, v4
	s_lshl_b64 s[0:1], s[14:15], 11
.LBB18_19:                              ; =>This Inner Loop Header: Depth=1
	flat_load_b32 v5, v[2:3]
	v_add_nc_u64_e32 v[0:1], 0x200, v[0:1]
	s_delay_alu instid0(VALU_DEP_1)
	v_cmp_le_i64_e32 vcc_lo, s[4:5], v[0:1]
	s_or_b32 s2, vcc_lo, s2
	s_wait_loadcnt_dscnt 0x0
	v_mul_f32_e32 v5, v4, v5
	flat_store_b32 v[2:3], v5
	s_wait_xcnt 0x0
	v_add_nc_u64_e32 v[2:3], s[0:1], v[2:3]
	s_and_not1_b32 exec_lo, exec_lo, s2
	s_cbranch_execnz .LBB18_19
.LBB18_20:
	s_endpgm
.LBB18_21:
	s_mov_b32 s17, 0
                                        ; implicit-def: $vgpr4
	s_cbranch_execz .LBB18_14
	s_branch .LBB18_23
.LBB18_22:
	v_mov_b32_e32 v4, 0
	s_mov_b32 s17, -1
	flat_load_b32 v4, v4, s[8:9]
	s_and_b32 vcc_lo, exec_lo, s18
	s_cbranch_vccz .LBB18_14
.LBB18_23:
	s_wait_xcnt 0x0
	v_mov_b32_e32 v6, 0
	s_mov_b32 s17, s16
	flat_load_b32 v7, v6, s[8:9]
	s_wait_loadcnt_dscnt 0x0
	v_fmac_f32_e32 v5, v7, v7
	s_delay_alu instid0(VALU_DEP_1) | instskip(SKIP_1) | instid1(VALU_DEP_2)
	v_mul_f32_e32 v4, 0x4f800000, v5
	v_cmp_gt_f32_e32 vcc_lo, 0xf800000, v5
	v_cndmask_b32_e32 v4, v5, v4, vcc_lo
	s_delay_alu instid0(VALU_DEP_1) | instskip(SKIP_1) | instid1(TRANS32_DEP_1)
	v_sqrt_f32_e32 v5, v4
	v_nop
	v_dual_add_nc_u32 v8, -1, v5 :: v_dual_add_nc_u32 v9, 1, v5
	s_delay_alu instid0(VALU_DEP_1) | instskip(NEXT) | instid1(VALU_DEP_1)
	v_dual_fma_f32 v10, -v8, v5, v4 :: v_dual_fma_f32 v11, -v9, v5, v4
	v_cmp_ge_f32_e64 s0, 0, v10
	s_delay_alu instid0(VALU_DEP_1) | instskip(NEXT) | instid1(VALU_DEP_3)
	v_cndmask_b32_e64 v5, v5, v8, s0
	v_cmp_lt_f32_e64 s0, 0, v11
	s_delay_alu instid0(VALU_DEP_1) | instskip(SKIP_1) | instid1(VALU_DEP_1)
	v_cndmask_b32_e64 v5, v5, v9, s0
	s_mov_b32 s0, s1
	v_mul_f32_e32 v8, 0x37800000, v5
	s_delay_alu instid0(VALU_DEP_1) | instskip(SKIP_1) | instid1(VALU_DEP_2)
	v_cndmask_b32_e32 v5, v5, v8, vcc_lo
	v_cmp_class_f32_e64 vcc_lo, v4, 0x260
	v_cndmask_b32_e32 v4, v5, v4, vcc_lo
	v_cmp_le_f32_e32 vcc_lo, 0, v7
	s_delay_alu instid0(VALU_DEP_2) | instskip(NEXT) | instid1(VALU_DEP_1)
	v_cndmask_b32_e64 v4, v4, -v4, vcc_lo
	v_sub_f32_e32 v5, v7, v4
	s_delay_alu instid0(VALU_DEP_1) | instskip(SKIP_1) | instid1(VALU_DEP_2)
	v_div_scale_f32 v7, null, v5, v5, 1.0
	v_div_scale_f32 v10, vcc_lo, 1.0, v5, 1.0
	v_rcp_f32_e32 v8, v7
	v_nop
	s_delay_alu instid0(TRANS32_DEP_1) | instskip(NEXT) | instid1(VALU_DEP_1)
	v_fma_f32 v9, -v7, v8, 1.0
	v_fmac_f32_e32 v8, v9, v8
	s_delay_alu instid0(VALU_DEP_1) | instskip(NEXT) | instid1(VALU_DEP_1)
	v_mul_f32_e32 v9, v10, v8
	v_fma_f32 v11, -v7, v9, v10
	s_delay_alu instid0(VALU_DEP_1) | instskip(NEXT) | instid1(VALU_DEP_1)
	v_fmac_f32_e32 v9, v11, v8
	v_fma_f32 v7, -v7, v9, v10
	s_delay_alu instid0(VALU_DEP_1) | instskip(NEXT) | instid1(VALU_DEP_1)
	v_div_fmas_f32 v7, v7, v8, v9
	v_div_fixup_f32 v5, v7, v5, 1.0
	ds_store_b32 v6, v5
	flat_load_b32 v5, v6, s[8:9]
	s_wait_loadcnt_dscnt 0x0
	v_sub_f32_e32 v5, v4, v5
	s_delay_alu instid0(VALU_DEP_1) | instskip(NEXT) | instid1(VALU_DEP_1)
	v_div_scale_f32 v7, null, v4, v4, v5
	v_rcp_f32_e32 v8, v7
	v_nop
	s_delay_alu instid0(TRANS32_DEP_1) | instskip(NEXT) | instid1(VALU_DEP_1)
	v_fma_f32 v9, -v7, v8, 1.0
	v_fmac_f32_e32 v8, v9, v8
	v_div_scale_f32 v9, vcc_lo, v5, v4, v5
	s_delay_alu instid0(VALU_DEP_1) | instskip(NEXT) | instid1(VALU_DEP_1)
	v_mul_f32_e32 v10, v9, v8
	v_fma_f32 v11, -v7, v10, v9
	s_delay_alu instid0(VALU_DEP_1) | instskip(NEXT) | instid1(VALU_DEP_1)
	v_fmac_f32_e32 v10, v11, v8
	v_fma_f32 v7, -v7, v10, v9
	s_delay_alu instid0(VALU_DEP_1) | instskip(NEXT) | instid1(VALU_DEP_1)
	v_div_fmas_f32 v7, v7, v8, v10
	v_div_fixup_f32 v5, v7, v4, v5
	global_store_b32 v6, v5, s[10:11]
	s_and_not1_b32 vcc_lo, exec_lo, s17
	s_cbranch_vccnz .LBB18_15
.LBB18_24:
	s_wait_xcnt 0x0
	v_mov_b32_e32 v5, 0
	s_wait_loadcnt_dscnt 0x0
	global_store_b32 v5, v4, s[20:21]
	s_wait_xcnt 0x0
	v_mov_b32_e32 v4, 1.0
	s_branch .LBB18_16
	.section	.rodata,"a",@progbits
	.p2align	6, 0x0
	.amdhsa_kernel _ZN9rocsolver6v33100L18larfg_kernel_smallILi512EflfPKPfEEvT1_T3_llPT2_llS6_lS5_lPT0_l
		.amdhsa_group_segment_fixed_size 64
		.amdhsa_private_segment_fixed_size 0
		.amdhsa_kernarg_size 104
		.amdhsa_user_sgpr_count 2
		.amdhsa_user_sgpr_dispatch_ptr 0
		.amdhsa_user_sgpr_queue_ptr 0
		.amdhsa_user_sgpr_kernarg_segment_ptr 1
		.amdhsa_user_sgpr_dispatch_id 0
		.amdhsa_user_sgpr_kernarg_preload_length 0
		.amdhsa_user_sgpr_kernarg_preload_offset 0
		.amdhsa_user_sgpr_private_segment_size 0
		.amdhsa_wavefront_size32 1
		.amdhsa_uses_dynamic_stack 0
		.amdhsa_enable_private_segment 0
		.amdhsa_system_sgpr_workgroup_id_x 1
		.amdhsa_system_sgpr_workgroup_id_y 0
		.amdhsa_system_sgpr_workgroup_id_z 1
		.amdhsa_system_sgpr_workgroup_info 0
		.amdhsa_system_vgpr_workitem_id 0
		.amdhsa_next_free_vgpr 15
		.amdhsa_next_free_sgpr 26
		.amdhsa_named_barrier_count 0
		.amdhsa_reserve_vcc 1
		.amdhsa_float_round_mode_32 0
		.amdhsa_float_round_mode_16_64 0
		.amdhsa_float_denorm_mode_32 3
		.amdhsa_float_denorm_mode_16_64 3
		.amdhsa_fp16_overflow 0
		.amdhsa_memory_ordered 1
		.amdhsa_forward_progress 1
		.amdhsa_inst_pref_size 13
		.amdhsa_round_robin_scheduling 0
		.amdhsa_exception_fp_ieee_invalid_op 0
		.amdhsa_exception_fp_denorm_src 0
		.amdhsa_exception_fp_ieee_div_zero 0
		.amdhsa_exception_fp_ieee_overflow 0
		.amdhsa_exception_fp_ieee_underflow 0
		.amdhsa_exception_fp_ieee_inexact 0
		.amdhsa_exception_int_div_zero 0
	.end_amdhsa_kernel
	.section	.text._ZN9rocsolver6v33100L18larfg_kernel_smallILi512EflfPKPfEEvT1_T3_llPT2_llS6_lS5_lPT0_l,"axG",@progbits,_ZN9rocsolver6v33100L18larfg_kernel_smallILi512EflfPKPfEEvT1_T3_llPT2_llS6_lS5_lPT0_l,comdat
.Lfunc_end18:
	.size	_ZN9rocsolver6v33100L18larfg_kernel_smallILi512EflfPKPfEEvT1_T3_llPT2_llS6_lS5_lPT0_l, .Lfunc_end18-_ZN9rocsolver6v33100L18larfg_kernel_smallILi512EflfPKPfEEvT1_T3_llPT2_llS6_lS5_lPT0_l
                                        ; -- End function
	.set _ZN9rocsolver6v33100L18larfg_kernel_smallILi512EflfPKPfEEvT1_T3_llPT2_llS6_lS5_lPT0_l.num_vgpr, 15
	.set _ZN9rocsolver6v33100L18larfg_kernel_smallILi512EflfPKPfEEvT1_T3_llPT2_llS6_lS5_lPT0_l.num_agpr, 0
	.set _ZN9rocsolver6v33100L18larfg_kernel_smallILi512EflfPKPfEEvT1_T3_llPT2_llS6_lS5_lPT0_l.numbered_sgpr, 26
	.set _ZN9rocsolver6v33100L18larfg_kernel_smallILi512EflfPKPfEEvT1_T3_llPT2_llS6_lS5_lPT0_l.num_named_barrier, 0
	.set _ZN9rocsolver6v33100L18larfg_kernel_smallILi512EflfPKPfEEvT1_T3_llPT2_llS6_lS5_lPT0_l.private_seg_size, 0
	.set _ZN9rocsolver6v33100L18larfg_kernel_smallILi512EflfPKPfEEvT1_T3_llPT2_llS6_lS5_lPT0_l.uses_vcc, 1
	.set _ZN9rocsolver6v33100L18larfg_kernel_smallILi512EflfPKPfEEvT1_T3_llPT2_llS6_lS5_lPT0_l.uses_flat_scratch, 0
	.set _ZN9rocsolver6v33100L18larfg_kernel_smallILi512EflfPKPfEEvT1_T3_llPT2_llS6_lS5_lPT0_l.has_dyn_sized_stack, 0
	.set _ZN9rocsolver6v33100L18larfg_kernel_smallILi512EflfPKPfEEvT1_T3_llPT2_llS6_lS5_lPT0_l.has_recursion, 0
	.set _ZN9rocsolver6v33100L18larfg_kernel_smallILi512EflfPKPfEEvT1_T3_llPT2_llS6_lS5_lPT0_l.has_indirect_call, 0
	.section	.AMDGPU.csdata,"",@progbits
; Kernel info:
; codeLenInByte = 1576
; TotalNumSgprs: 28
; NumVgprs: 15
; ScratchSize: 0
; MemoryBound: 0
; FloatMode: 240
; IeeeMode: 1
; LDSByteSize: 64 bytes/workgroup (compile time only)
; SGPRBlocks: 0
; VGPRBlocks: 0
; NumSGPRsForWavesPerEU: 28
; NumVGPRsForWavesPerEU: 15
; NamedBarCnt: 0
; Occupancy: 16
; WaveLimiterHint : 1
; COMPUTE_PGM_RSRC2:SCRATCH_EN: 0
; COMPUTE_PGM_RSRC2:USER_SGPR: 2
; COMPUTE_PGM_RSRC2:TRAP_HANDLER: 0
; COMPUTE_PGM_RSRC2:TGID_X_EN: 1
; COMPUTE_PGM_RSRC2:TGID_Y_EN: 0
; COMPUTE_PGM_RSRC2:TGID_Z_EN: 1
; COMPUTE_PGM_RSRC2:TIDIG_COMP_CNT: 0
	.section	.text._ZN9rocsolver6v33100L18larfg_kernel_smallILi1024EflfPKPfEEvT1_T3_llPT2_llS6_lS5_lPT0_l,"axG",@progbits,_ZN9rocsolver6v33100L18larfg_kernel_smallILi1024EflfPKPfEEvT1_T3_llPT2_llS6_lS5_lPT0_l,comdat
	.globl	_ZN9rocsolver6v33100L18larfg_kernel_smallILi1024EflfPKPfEEvT1_T3_llPT2_llS6_lS5_lPT0_l ; -- Begin function _ZN9rocsolver6v33100L18larfg_kernel_smallILi1024EflfPKPfEEvT1_T3_llPT2_llS6_lS5_lPT0_l
	.p2align	8
	.type	_ZN9rocsolver6v33100L18larfg_kernel_smallILi1024EflfPKPfEEvT1_T3_llPT2_llS6_lS5_lPT0_l,@function
_ZN9rocsolver6v33100L18larfg_kernel_smallILi1024EflfPKPfEEvT1_T3_llPT2_llS6_lS5_lPT0_l: ; @_ZN9rocsolver6v33100L18larfg_kernel_smallILi1024EflfPKPfEEvT1_T3_llPT2_llS6_lS5_lPT0_l
; %bb.0:
	s_clause 0x3
	s_load_b256 s[4:11], s[0:1], 0x20
	s_load_b128 s[16:19], s[0:1], 0x0
	s_load_b64 s[22:23], s[0:1], 0x10
	s_load_b128 s[12:15], s[0:1], 0x40
	s_bfe_u32 s2, ttmp6, 0x40014
	s_lshr_b32 s3, ttmp7, 16
	s_add_co_i32 s2, s2, 1
	s_bfe_u32 s20, ttmp6, 0x40008
	s_mul_i32 s2, s3, s2
	s_getreg_b32 s21, hwreg(HW_REG_IB_STS2, 6, 4)
	s_add_co_i32 s20, s20, s2
	s_cmp_eq_u32 s21, 0
	s_mov_b32 s25, 0
	s_cselect_b32 s24, s3, s20
	s_mov_b64 s[20:21], 0
	s_wait_kmcnt 0x0
	s_cmp_eq_u64 s[4:5], 0
	s_cbranch_scc1 .LBB19_2
; %bb.1:
	s_mul_u64 s[2:3], s[8:9], s[24:25]
	s_delay_alu instid0(SALU_CYCLE_1) | instskip(NEXT) | instid1(SALU_CYCLE_1)
	s_lshl_b64 s[2:3], s[2:3], 2
	s_add_nc_u64 s[2:3], s[4:5], s[2:3]
	s_lshl_b64 s[4:5], s[6:7], 2
	s_delay_alu instid0(SALU_CYCLE_1)
	s_add_nc_u64 s[20:21], s[2:3], s[4:5]
.LBB19_2:
	v_mov_b32_e32 v1, 0
	s_load_b64 s[8:9], s[18:19], s24 offset:0x0 scale_offset
	s_load_b64 s[6:7], s[10:11], s24 offset:0x0 scale_offset
	s_add_nc_u64 s[4:5], s[16:17], -1
	s_delay_alu instid0(VALU_DEP_1)
	v_mul_u64_e32 v[2:3], s[14:15], v[0:1]
	v_cmp_gt_i64_e64 s2, s[4:5], v[0:1]
	v_mov_b32_e32 v8, v1
	s_and_saveexec_b32 s3, s2
	s_cbranch_execz .LBB19_6
; %bb.3:
	s_wait_xcnt 0x0
	s_lshl_b64 s[10:11], s[12:13], 2
	v_mov_b64_e32 v[6:7], v[0:1]
	s_wait_kmcnt 0x0
	s_add_nc_u64 s[10:11], s[6:7], s[10:11]
	v_mov_b32_e32 v8, 0
	v_lshl_add_u64 v[4:5], v[2:3], 2, s[10:11]
	s_lshl_b64 s[10:11], s[14:15], 12
	s_mov_b32 s16, 0
.LBB19_4:                               ; =>This Inner Loop Header: Depth=1
	flat_load_b32 v9, v[4:5]
	v_add_nc_u64_e32 v[6:7], 0x400, v[6:7]
	s_wait_xcnt 0x0
	v_add_nc_u64_e32 v[4:5], s[10:11], v[4:5]
	s_delay_alu instid0(VALU_DEP_2)
	v_cmp_le_i64_e32 vcc_lo, s[4:5], v[6:7]
	s_or_b32 s16, vcc_lo, s16
	s_wait_loadcnt_dscnt 0x0
	v_fmac_f32_e32 v8, v9, v9
	s_and_not1_b32 exec_lo, exec_lo, s16
	s_cbranch_execnz .LBB19_4
; %bb.5:
	s_or_b32 exec_lo, exec_lo, s16
.LBB19_6:
	s_delay_alu instid0(SALU_CYCLE_1) | instskip(SKIP_2) | instid1(VALU_DEP_1)
	s_or_b32 exec_lo, exec_lo, s3
	v_mbcnt_lo_u32_b32 v4, -1, 0
	s_mov_b32 s3, exec_lo
	v_cmp_ne_u32_e32 vcc_lo, 31, v4
	v_add_co_ci_u32_e64 v5, null, 0, v4, vcc_lo
	v_cmp_gt_u32_e32 vcc_lo, 30, v4
	s_delay_alu instid0(VALU_DEP_2)
	v_lshlrev_b32_e32 v5, 2, v5
	v_cndmask_b32_e64 v6, 0, 2, vcc_lo
	v_cmp_gt_u32_e32 vcc_lo, 28, v4
	ds_bpermute_b32 v5, v5, v8
	v_add_lshl_u32 v6, v6, v4, 2
	v_cndmask_b32_e64 v7, 0, 4, vcc_lo
	v_cmp_gt_u32_e32 vcc_lo, 24, v4
	s_delay_alu instid0(VALU_DEP_2)
	v_add_lshl_u32 v7, v7, v4, 2
	s_wait_dscnt 0x0
	v_add_f32_e32 v5, v8, v5
	ds_bpermute_b32 v6, v6, v5
	s_wait_dscnt 0x0
	v_add_f32_e32 v5, v5, v6
	ds_bpermute_b32 v6, v7, v5
	v_cndmask_b32_e64 v7, 0, 8, vcc_lo
	s_delay_alu instid0(VALU_DEP_1)
	v_add_lshl_u32 v7, v7, v4, 2
	v_lshl_or_b32 v4, v4, 2, 64
	s_wait_dscnt 0x0
	v_add_f32_e32 v5, v5, v6
	ds_bpermute_b32 v6, v7, v5
	s_wait_dscnt 0x0
	v_dual_add_f32 v5, v5, v6 :: v_dual_bitop2_b32 v6, 31, v0 bitop3:0x40
	ds_bpermute_b32 v4, v4, v5
	s_wait_dscnt 0x0
	v_add_f32_e32 v4, v5, v4
	v_cmpx_eq_u32_e32 0, v6
; %bb.7:
	v_lshrrev_b32_e32 v5, 3, v0
	ds_store_b32 v5, v4
; %bb.8:
	s_or_b32 exec_lo, exec_lo, s3
	v_cmp_eq_u32_e32 vcc_lo, 0, v0
	s_wait_dscnt 0x0
	s_barrier_signal -1
	s_barrier_wait -1
	s_and_saveexec_b32 s3, vcc_lo
	s_cbranch_execz .LBB19_10
; %bb.9:
	v_mov_b32_e32 v14, 0
	ds_load_2addr_b32 v[6:7], v14 offset0:1 offset1:2
	ds_load_2addr_b32 v[8:9], v14 offset0:3 offset1:4
	;; [unrolled: 1-line block ×4, first 2 shown]
	s_wait_dscnt 0x3
	v_add_f32_e32 v4, v4, v6
	s_delay_alu instid0(VALU_DEP_1) | instskip(SKIP_1) | instid1(VALU_DEP_1)
	v_add_f32_e32 v4, v4, v7
	s_wait_dscnt 0x2
	v_add_f32_e32 v4, v4, v8
	s_delay_alu instid0(VALU_DEP_1) | instskip(SKIP_3) | instid1(VALU_DEP_1)
	v_add_f32_e32 v6, v4, v9
	ds_load_2addr_b32 v[4:5], v14 offset0:9 offset1:10
	s_wait_dscnt 0x2
	v_add_f32_e32 v6, v6, v10
	v_add_f32_e32 v8, v6, v11
	ds_load_2addr_b32 v[6:7], v14 offset0:11 offset1:12
	s_wait_dscnt 0x2
	v_add_f32_e32 v8, v8, v12
	s_delay_alu instid0(VALU_DEP_1) | instskip(SKIP_4) | instid1(VALU_DEP_1)
	v_add_f32_e32 v12, v8, v13
	ds_load_2addr_b32 v[8:9], v14 offset0:13 offset1:14
	ds_load_2addr_b32 v[10:11], v14 offset0:15 offset1:16
	s_wait_dscnt 0x3
	v_add_f32_e32 v4, v12, v4
	v_add_f32_e32 v4, v4, v5
	s_wait_dscnt 0x2
	s_delay_alu instid0(VALU_DEP_1) | instskip(NEXT) | instid1(VALU_DEP_1)
	v_add_f32_e32 v4, v4, v6
	v_add_f32_e32 v6, v4, v7
	ds_load_2addr_b32 v[4:5], v14 offset0:17 offset1:18
	s_wait_dscnt 0x2
	v_add_f32_e32 v6, v6, v8
	s_delay_alu instid0(VALU_DEP_1) | instskip(SKIP_3) | instid1(VALU_DEP_1)
	v_add_f32_e32 v8, v6, v9
	ds_load_2addr_b32 v[6:7], v14 offset0:19 offset1:20
	s_wait_dscnt 0x2
	v_add_f32_e32 v8, v8, v10
	v_add_f32_e32 v12, v8, v11
	ds_load_2addr_b32 v[8:9], v14 offset0:21 offset1:22
	ds_load_2addr_b32 v[10:11], v14 offset0:23 offset1:24
	s_wait_dscnt 0x3
	v_add_f32_e32 v4, v12, v4
	s_delay_alu instid0(VALU_DEP_1) | instskip(SKIP_1) | instid1(VALU_DEP_1)
	v_add_f32_e32 v4, v4, v5
	s_wait_dscnt 0x2
	v_add_f32_e32 v4, v4, v6
	s_delay_alu instid0(VALU_DEP_1) | instskip(SKIP_1) | instid1(VALU_DEP_1)
	v_add_f32_e32 v4, v4, v7
	s_wait_dscnt 0x1
	v_add_f32_e32 v6, v4, v8
	ds_load_2addr_b32 v[4:5], v14 offset0:25 offset1:26
	v_add_f32_e32 v6, v6, v9
	s_wait_dscnt 0x1
	s_delay_alu instid0(VALU_DEP_1)
	v_add_f32_e32 v8, v6, v10
	ds_load_2addr_b32 v[6:7], v14 offset0:27 offset1:28
	v_add_f32_e32 v10, v8, v11
	ds_load_2addr_b32 v[8:9], v14 offset0:29 offset1:30
	ds_load_b32 v11, v14 offset:124
	s_wait_dscnt 0x3
	v_add_f32_e32 v4, v10, v4
	s_delay_alu instid0(VALU_DEP_1) | instskip(SKIP_1) | instid1(VALU_DEP_1)
	v_add_f32_e32 v4, v4, v5
	s_wait_dscnt 0x2
	v_add_f32_e32 v4, v4, v6
	s_delay_alu instid0(VALU_DEP_1) | instskip(SKIP_1) | instid1(VALU_DEP_1)
	v_add_f32_e32 v4, v4, v7
	;; [unrolled: 4-line block ×3, first 2 shown]
	s_wait_dscnt 0x0
	v_add_f32_e32 v4, v4, v11
	ds_store_b32 v14, v4
.LBB19_10:
	s_or_b32 exec_lo, exec_lo, s3
	s_wait_dscnt 0x0
	s_barrier_signal -1
	s_barrier_wait -1
	s_and_saveexec_b32 s3, vcc_lo
	s_cbranch_execz .LBB19_17
; %bb.11:
	v_mov_b32_e32 v6, 0
	s_wait_xcnt 0x0
	s_load_b128 s[16:19], s[0:1], 0x58
	s_wait_xcnt 0x0
	s_lshl_b64 s[0:1], s[22:23], 2
	s_wait_kmcnt 0x0
	s_add_nc_u64 s[8:9], s[8:9], s[0:1]
	ds_load_b32 v5, v6
	s_mov_b32 s0, 0
	s_mul_u64 s[10:11], s[18:19], s[24:25]
	s_delay_alu instid0(SALU_CYCLE_1)
	s_lshl_b64 s[10:11], s[10:11], 2
	s_cmp_eq_u64 s[20:21], 0
	s_wait_dscnt 0x0
	v_cmp_nlt_f32_e32 vcc_lo, 0, v5
	s_cselect_b32 s1, -1, 0
	s_cmp_lg_u64 s[20:21], 0
	s_add_nc_u64 s[10:11], s[16:17], s[10:11]
	s_cselect_b32 s16, -1, 0
	s_cbranch_vccz .LBB19_21
; %bb.12:
	v_mov_b32_e32 v7, 1.0
	s_mov_b32 s18, 0
	s_and_b32 vcc_lo, exec_lo, s16
	s_mov_b32 s17, 0
                                        ; implicit-def: $vgpr4
	global_store_b32 v6, v6, s[10:11]
	ds_store_b32 v6, v7
	s_cbranch_vccnz .LBB19_22
; %bb.13:
	s_and_b32 vcc_lo, exec_lo, s18
	s_cbranch_vccnz .LBB19_23
.LBB19_14:
	s_and_not1_b32 vcc_lo, exec_lo, s17
	s_cbranch_vccz .LBB19_24
.LBB19_15:
	s_and_not1_b32 vcc_lo, exec_lo, s0
	s_cbranch_vccnz .LBB19_17
.LBB19_16:
	s_wait_xcnt 0x0
	v_mov_b32_e32 v5, 0
	s_wait_loadcnt_dscnt 0x0
	flat_store_b32 v5, v4, s[8:9]
.LBB19_17:
	s_wait_xcnt 0x0
	s_or_b32 exec_lo, exec_lo, s3
	s_wait_storecnt 0x0
	s_wait_loadcnt_dscnt 0x0
	s_barrier_signal -1
	s_barrier_wait -1
	s_and_saveexec_b32 s0, s2
	s_cbranch_execz .LBB19_20
; %bb.18:
	v_mov_b32_e32 v4, 0
	s_lshl_b64 s[0:1], s[12:13], 2
	s_mov_b32 s2, 0
	s_wait_kmcnt 0x0
	s_add_nc_u64 s[0:1], s[6:7], s[0:1]
	s_delay_alu instid0(SALU_CYCLE_1)
	v_lshl_add_u64 v[2:3], v[2:3], 2, s[0:1]
	ds_load_b32 v4, v4
	s_lshl_b64 s[0:1], s[14:15], 12
.LBB19_19:                              ; =>This Inner Loop Header: Depth=1
	flat_load_b32 v5, v[2:3]
	v_add_nc_u64_e32 v[0:1], 0x400, v[0:1]
	s_delay_alu instid0(VALU_DEP_1)
	v_cmp_le_i64_e32 vcc_lo, s[4:5], v[0:1]
	s_or_b32 s2, vcc_lo, s2
	s_wait_loadcnt_dscnt 0x0
	v_mul_f32_e32 v5, v4, v5
	flat_store_b32 v[2:3], v5
	s_wait_xcnt 0x0
	v_add_nc_u64_e32 v[2:3], s[0:1], v[2:3]
	s_and_not1_b32 exec_lo, exec_lo, s2
	s_cbranch_execnz .LBB19_19
.LBB19_20:
	s_endpgm
.LBB19_21:
	s_mov_b32 s17, 0
                                        ; implicit-def: $vgpr4
	s_cbranch_execz .LBB19_14
	s_branch .LBB19_23
.LBB19_22:
	v_mov_b32_e32 v4, 0
	s_mov_b32 s17, -1
	flat_load_b32 v4, v4, s[8:9]
	s_and_b32 vcc_lo, exec_lo, s18
	s_cbranch_vccz .LBB19_14
.LBB19_23:
	s_wait_xcnt 0x0
	v_mov_b32_e32 v6, 0
	s_mov_b32 s17, s16
	flat_load_b32 v7, v6, s[8:9]
	s_wait_loadcnt_dscnt 0x0
	v_fmac_f32_e32 v5, v7, v7
	s_delay_alu instid0(VALU_DEP_1) | instskip(SKIP_1) | instid1(VALU_DEP_2)
	v_mul_f32_e32 v4, 0x4f800000, v5
	v_cmp_gt_f32_e32 vcc_lo, 0xf800000, v5
	v_cndmask_b32_e32 v4, v5, v4, vcc_lo
	s_delay_alu instid0(VALU_DEP_1) | instskip(SKIP_1) | instid1(TRANS32_DEP_1)
	v_sqrt_f32_e32 v5, v4
	v_nop
	v_dual_add_nc_u32 v8, -1, v5 :: v_dual_add_nc_u32 v9, 1, v5
	s_delay_alu instid0(VALU_DEP_1) | instskip(NEXT) | instid1(VALU_DEP_1)
	v_dual_fma_f32 v10, -v8, v5, v4 :: v_dual_fma_f32 v11, -v9, v5, v4
	v_cmp_ge_f32_e64 s0, 0, v10
	s_delay_alu instid0(VALU_DEP_1) | instskip(NEXT) | instid1(VALU_DEP_3)
	v_cndmask_b32_e64 v5, v5, v8, s0
	v_cmp_lt_f32_e64 s0, 0, v11
	s_delay_alu instid0(VALU_DEP_1) | instskip(SKIP_1) | instid1(VALU_DEP_1)
	v_cndmask_b32_e64 v5, v5, v9, s0
	s_mov_b32 s0, s1
	v_mul_f32_e32 v8, 0x37800000, v5
	s_delay_alu instid0(VALU_DEP_1) | instskip(SKIP_1) | instid1(VALU_DEP_2)
	v_cndmask_b32_e32 v5, v5, v8, vcc_lo
	v_cmp_class_f32_e64 vcc_lo, v4, 0x260
	v_cndmask_b32_e32 v4, v5, v4, vcc_lo
	v_cmp_le_f32_e32 vcc_lo, 0, v7
	s_delay_alu instid0(VALU_DEP_2) | instskip(NEXT) | instid1(VALU_DEP_1)
	v_cndmask_b32_e64 v4, v4, -v4, vcc_lo
	v_sub_f32_e32 v5, v7, v4
	s_delay_alu instid0(VALU_DEP_1) | instskip(SKIP_1) | instid1(VALU_DEP_2)
	v_div_scale_f32 v7, null, v5, v5, 1.0
	v_div_scale_f32 v10, vcc_lo, 1.0, v5, 1.0
	v_rcp_f32_e32 v8, v7
	v_nop
	s_delay_alu instid0(TRANS32_DEP_1) | instskip(NEXT) | instid1(VALU_DEP_1)
	v_fma_f32 v9, -v7, v8, 1.0
	v_fmac_f32_e32 v8, v9, v8
	s_delay_alu instid0(VALU_DEP_1) | instskip(NEXT) | instid1(VALU_DEP_1)
	v_mul_f32_e32 v9, v10, v8
	v_fma_f32 v11, -v7, v9, v10
	s_delay_alu instid0(VALU_DEP_1) | instskip(NEXT) | instid1(VALU_DEP_1)
	v_fmac_f32_e32 v9, v11, v8
	v_fma_f32 v7, -v7, v9, v10
	s_delay_alu instid0(VALU_DEP_1) | instskip(NEXT) | instid1(VALU_DEP_1)
	v_div_fmas_f32 v7, v7, v8, v9
	v_div_fixup_f32 v5, v7, v5, 1.0
	ds_store_b32 v6, v5
	flat_load_b32 v5, v6, s[8:9]
	s_wait_loadcnt_dscnt 0x0
	v_sub_f32_e32 v5, v4, v5
	s_delay_alu instid0(VALU_DEP_1) | instskip(NEXT) | instid1(VALU_DEP_1)
	v_div_scale_f32 v7, null, v4, v4, v5
	v_rcp_f32_e32 v8, v7
	v_nop
	s_delay_alu instid0(TRANS32_DEP_1) | instskip(NEXT) | instid1(VALU_DEP_1)
	v_fma_f32 v9, -v7, v8, 1.0
	v_fmac_f32_e32 v8, v9, v8
	v_div_scale_f32 v9, vcc_lo, v5, v4, v5
	s_delay_alu instid0(VALU_DEP_1) | instskip(NEXT) | instid1(VALU_DEP_1)
	v_mul_f32_e32 v10, v9, v8
	v_fma_f32 v11, -v7, v10, v9
	s_delay_alu instid0(VALU_DEP_1) | instskip(NEXT) | instid1(VALU_DEP_1)
	v_fmac_f32_e32 v10, v11, v8
	v_fma_f32 v7, -v7, v10, v9
	s_delay_alu instid0(VALU_DEP_1) | instskip(NEXT) | instid1(VALU_DEP_1)
	v_div_fmas_f32 v7, v7, v8, v10
	v_div_fixup_f32 v5, v7, v4, v5
	global_store_b32 v6, v5, s[10:11]
	s_and_not1_b32 vcc_lo, exec_lo, s17
	s_cbranch_vccnz .LBB19_15
.LBB19_24:
	s_wait_xcnt 0x0
	v_mov_b32_e32 v5, 0
	s_wait_loadcnt_dscnt 0x0
	global_store_b32 v5, v4, s[20:21]
	s_wait_xcnt 0x0
	v_mov_b32_e32 v4, 1.0
	s_branch .LBB19_16
	.section	.rodata,"a",@progbits
	.p2align	6, 0x0
	.amdhsa_kernel _ZN9rocsolver6v33100L18larfg_kernel_smallILi1024EflfPKPfEEvT1_T3_llPT2_llS6_lS5_lPT0_l
		.amdhsa_group_segment_fixed_size 128
		.amdhsa_private_segment_fixed_size 0
		.amdhsa_kernarg_size 104
		.amdhsa_user_sgpr_count 2
		.amdhsa_user_sgpr_dispatch_ptr 0
		.amdhsa_user_sgpr_queue_ptr 0
		.amdhsa_user_sgpr_kernarg_segment_ptr 1
		.amdhsa_user_sgpr_dispatch_id 0
		.amdhsa_user_sgpr_kernarg_preload_length 0
		.amdhsa_user_sgpr_kernarg_preload_offset 0
		.amdhsa_user_sgpr_private_segment_size 0
		.amdhsa_wavefront_size32 1
		.amdhsa_uses_dynamic_stack 0
		.amdhsa_enable_private_segment 0
		.amdhsa_system_sgpr_workgroup_id_x 1
		.amdhsa_system_sgpr_workgroup_id_y 0
		.amdhsa_system_sgpr_workgroup_id_z 1
		.amdhsa_system_sgpr_workgroup_info 0
		.amdhsa_system_vgpr_workitem_id 0
		.amdhsa_next_free_vgpr 15
		.amdhsa_next_free_sgpr 26
		.amdhsa_named_barrier_count 0
		.amdhsa_reserve_vcc 1
		.amdhsa_float_round_mode_32 0
		.amdhsa_float_round_mode_16_64 0
		.amdhsa_float_denorm_mode_32 3
		.amdhsa_float_denorm_mode_16_64 3
		.amdhsa_fp16_overflow 0
		.amdhsa_memory_ordered 1
		.amdhsa_forward_progress 1
		.amdhsa_inst_pref_size 14
		.amdhsa_round_robin_scheduling 0
		.amdhsa_exception_fp_ieee_invalid_op 0
		.amdhsa_exception_fp_denorm_src 0
		.amdhsa_exception_fp_ieee_div_zero 0
		.amdhsa_exception_fp_ieee_overflow 0
		.amdhsa_exception_fp_ieee_underflow 0
		.amdhsa_exception_fp_ieee_inexact 0
		.amdhsa_exception_int_div_zero 0
	.end_amdhsa_kernel
	.section	.text._ZN9rocsolver6v33100L18larfg_kernel_smallILi1024EflfPKPfEEvT1_T3_llPT2_llS6_lS5_lPT0_l,"axG",@progbits,_ZN9rocsolver6v33100L18larfg_kernel_smallILi1024EflfPKPfEEvT1_T3_llPT2_llS6_lS5_lPT0_l,comdat
.Lfunc_end19:
	.size	_ZN9rocsolver6v33100L18larfg_kernel_smallILi1024EflfPKPfEEvT1_T3_llPT2_llS6_lS5_lPT0_l, .Lfunc_end19-_ZN9rocsolver6v33100L18larfg_kernel_smallILi1024EflfPKPfEEvT1_T3_llPT2_llS6_lS5_lPT0_l
                                        ; -- End function
	.set _ZN9rocsolver6v33100L18larfg_kernel_smallILi1024EflfPKPfEEvT1_T3_llPT2_llS6_lS5_lPT0_l.num_vgpr, 15
	.set _ZN9rocsolver6v33100L18larfg_kernel_smallILi1024EflfPKPfEEvT1_T3_llPT2_llS6_lS5_lPT0_l.num_agpr, 0
	.set _ZN9rocsolver6v33100L18larfg_kernel_smallILi1024EflfPKPfEEvT1_T3_llPT2_llS6_lS5_lPT0_l.numbered_sgpr, 26
	.set _ZN9rocsolver6v33100L18larfg_kernel_smallILi1024EflfPKPfEEvT1_T3_llPT2_llS6_lS5_lPT0_l.num_named_barrier, 0
	.set _ZN9rocsolver6v33100L18larfg_kernel_smallILi1024EflfPKPfEEvT1_T3_llPT2_llS6_lS5_lPT0_l.private_seg_size, 0
	.set _ZN9rocsolver6v33100L18larfg_kernel_smallILi1024EflfPKPfEEvT1_T3_llPT2_llS6_lS5_lPT0_l.uses_vcc, 1
	.set _ZN9rocsolver6v33100L18larfg_kernel_smallILi1024EflfPKPfEEvT1_T3_llPT2_llS6_lS5_lPT0_l.uses_flat_scratch, 0
	.set _ZN9rocsolver6v33100L18larfg_kernel_smallILi1024EflfPKPfEEvT1_T3_llPT2_llS6_lS5_lPT0_l.has_dyn_sized_stack, 0
	.set _ZN9rocsolver6v33100L18larfg_kernel_smallILi1024EflfPKPfEEvT1_T3_llPT2_llS6_lS5_lPT0_l.has_recursion, 0
	.set _ZN9rocsolver6v33100L18larfg_kernel_smallILi1024EflfPKPfEEvT1_T3_llPT2_llS6_lS5_lPT0_l.has_indirect_call, 0
	.section	.AMDGPU.csdata,"",@progbits
; Kernel info:
; codeLenInByte = 1756
; TotalNumSgprs: 28
; NumVgprs: 15
; ScratchSize: 0
; MemoryBound: 0
; FloatMode: 240
; IeeeMode: 1
; LDSByteSize: 128 bytes/workgroup (compile time only)
; SGPRBlocks: 0
; VGPRBlocks: 0
; NumSGPRsForWavesPerEU: 28
; NumVGPRsForWavesPerEU: 15
; NamedBarCnt: 0
; Occupancy: 16
; WaveLimiterHint : 1
; COMPUTE_PGM_RSRC2:SCRATCH_EN: 0
; COMPUTE_PGM_RSRC2:USER_SGPR: 2
; COMPUTE_PGM_RSRC2:TRAP_HANDLER: 0
; COMPUTE_PGM_RSRC2:TGID_X_EN: 1
; COMPUTE_PGM_RSRC2:TGID_Y_EN: 0
; COMPUTE_PGM_RSRC2:TGID_Z_EN: 1
; COMPUTE_PGM_RSRC2:TIDIG_COMP_CNT: 0
	.section	.AMDGPU.gpr_maximums,"",@progbits
	.set amdgpu.max_num_vgpr, 0
	.set amdgpu.max_num_agpr, 0
	.set amdgpu.max_num_sgpr, 0
	.section	.AMDGPU.csdata,"",@progbits
	.type	__hip_cuid_b5338207e684c4b2,@object ; @__hip_cuid_b5338207e684c4b2
	.section	.bss,"aw",@nobits
	.globl	__hip_cuid_b5338207e684c4b2
__hip_cuid_b5338207e684c4b2:
	.byte	0                               ; 0x0
	.size	__hip_cuid_b5338207e684c4b2, 1

	.ident	"AMD clang version 22.0.0git (https://github.com/RadeonOpenCompute/llvm-project roc-7.2.4 26084 f58b06dce1f9c15707c5f808fd002e18c2accf7e)"
	.section	".note.GNU-stack","",@progbits
	.addrsig
	.addrsig_sym __hip_cuid_b5338207e684c4b2
	.amdgpu_metadata
---
amdhsa.kernels:
  - .args:
      - .offset:         0
        .size:           4
        .value_kind:     by_value
      - .address_space:  global
        .offset:         8
        .size:           8
        .value_kind:     global_buffer
      - .offset:         16
        .size:           8
        .value_kind:     by_value
      - .offset:         24
        .size:           8
        .value_kind:     by_value
      - .address_space:  global
        .offset:         32
        .size:           8
        .value_kind:     global_buffer
      - .offset:         40
        .size:           8
        .value_kind:     by_value
      - .offset:         48
        .size:           8
        .value_kind:     by_value
      - .address_space:  global
        .offset:         56
        .size:           8
        .value_kind:     global_buffer
      - .offset:         64
        .size:           8
        .value_kind:     by_value
      - .offset:         72
        .size:           4
        .value_kind:     by_value
      - .offset:         80
        .size:           8
        .value_kind:     by_value
      - .address_space:  global
        .offset:         88
        .size:           8
        .value_kind:     global_buffer
      - .offset:         96
        .size:           8
        .value_kind:     by_value
    .group_segment_fixed_size: 8
    .kernarg_segment_align: 8
    .kernarg_segment_size: 104
    .language:       OpenCL C
    .language_version:
      - 2
      - 0
    .max_flat_workgroup_size: 64
    .name:           _ZN9rocsolver6v33100L18larfg_kernel_smallILi64EfifPfEEvT1_T3_llPT2_llS4_lS3_lPT0_l
    .private_segment_fixed_size: 0
    .sgpr_count:     27
    .sgpr_spill_count: 0
    .symbol:         _ZN9rocsolver6v33100L18larfg_kernel_smallILi64EfifPfEEvT1_T3_llPT2_llS4_lS3_lPT0_l.kd
    .uniform_work_group_size: 1
    .uses_dynamic_stack: false
    .vgpr_count:     16
    .vgpr_spill_count: 0
    .wavefront_size: 32
  - .args:
      - .offset:         0
        .size:           4
        .value_kind:     by_value
      - .address_space:  global
        .offset:         8
        .size:           8
        .value_kind:     global_buffer
      - .offset:         16
        .size:           8
        .value_kind:     by_value
      - .offset:         24
        .size:           8
        .value_kind:     by_value
      - .address_space:  global
        .offset:         32
        .size:           8
        .value_kind:     global_buffer
      - .offset:         40
        .size:           8
        .value_kind:     by_value
      - .offset:         48
        .size:           8
        .value_kind:     by_value
      - .address_space:  global
        .offset:         56
        .size:           8
        .value_kind:     global_buffer
      - .offset:         64
        .size:           8
        .value_kind:     by_value
      - .offset:         72
        .size:           4
        .value_kind:     by_value
      - .offset:         80
        .size:           8
        .value_kind:     by_value
      - .address_space:  global
        .offset:         88
        .size:           8
        .value_kind:     global_buffer
      - .offset:         96
        .size:           8
        .value_kind:     by_value
    .group_segment_fixed_size: 16
    .kernarg_segment_align: 8
    .kernarg_segment_size: 104
    .language:       OpenCL C
    .language_version:
      - 2
      - 0
    .max_flat_workgroup_size: 128
    .name:           _ZN9rocsolver6v33100L18larfg_kernel_smallILi128EfifPfEEvT1_T3_llPT2_llS4_lS3_lPT0_l
    .private_segment_fixed_size: 0
    .sgpr_count:     27
    .sgpr_spill_count: 0
    .symbol:         _ZN9rocsolver6v33100L18larfg_kernel_smallILi128EfifPfEEvT1_T3_llPT2_llS4_lS3_lPT0_l.kd
    .uniform_work_group_size: 1
    .uses_dynamic_stack: false
    .vgpr_count:     16
    .vgpr_spill_count: 0
    .wavefront_size: 32
  - .args:
      - .offset:         0
        .size:           4
        .value_kind:     by_value
      - .address_space:  global
        .offset:         8
        .size:           8
        .value_kind:     global_buffer
      - .offset:         16
        .size:           8
        .value_kind:     by_value
      - .offset:         24
        .size:           8
        .value_kind:     by_value
      - .address_space:  global
        .offset:         32
        .size:           8
        .value_kind:     global_buffer
      - .offset:         40
        .size:           8
        .value_kind:     by_value
      - .offset:         48
        .size:           8
        .value_kind:     by_value
      - .address_space:  global
        .offset:         56
        .size:           8
        .value_kind:     global_buffer
      - .offset:         64
        .size:           8
        .value_kind:     by_value
      - .offset:         72
        .size:           4
        .value_kind:     by_value
      - .offset:         80
        .size:           8
        .value_kind:     by_value
      - .address_space:  global
        .offset:         88
        .size:           8
        .value_kind:     global_buffer
      - .offset:         96
        .size:           8
        .value_kind:     by_value
    .group_segment_fixed_size: 32
    .kernarg_segment_align: 8
    .kernarg_segment_size: 104
    .language:       OpenCL C
    .language_version:
      - 2
      - 0
    .max_flat_workgroup_size: 256
    .name:           _ZN9rocsolver6v33100L18larfg_kernel_smallILi256EfifPfEEvT1_T3_llPT2_llS4_lS3_lPT0_l
    .private_segment_fixed_size: 0
    .sgpr_count:     27
    .sgpr_spill_count: 0
    .symbol:         _ZN9rocsolver6v33100L18larfg_kernel_smallILi256EfifPfEEvT1_T3_llPT2_llS4_lS3_lPT0_l.kd
    .uniform_work_group_size: 1
    .uses_dynamic_stack: false
    .vgpr_count:     16
    .vgpr_spill_count: 0
    .wavefront_size: 32
  - .args:
      - .offset:         0
        .size:           4
        .value_kind:     by_value
      - .address_space:  global
        .offset:         8
        .size:           8
        .value_kind:     global_buffer
      - .offset:         16
        .size:           8
        .value_kind:     by_value
      - .offset:         24
        .size:           8
        .value_kind:     by_value
      - .address_space:  global
        .offset:         32
        .size:           8
        .value_kind:     global_buffer
      - .offset:         40
        .size:           8
        .value_kind:     by_value
      - .offset:         48
        .size:           8
        .value_kind:     by_value
      - .address_space:  global
        .offset:         56
        .size:           8
        .value_kind:     global_buffer
      - .offset:         64
        .size:           8
        .value_kind:     by_value
      - .offset:         72
        .size:           4
        .value_kind:     by_value
      - .offset:         80
        .size:           8
        .value_kind:     by_value
      - .address_space:  global
        .offset:         88
        .size:           8
        .value_kind:     global_buffer
      - .offset:         96
        .size:           8
        .value_kind:     by_value
    .group_segment_fixed_size: 64
    .kernarg_segment_align: 8
    .kernarg_segment_size: 104
    .language:       OpenCL C
    .language_version:
      - 2
      - 0
    .max_flat_workgroup_size: 512
    .name:           _ZN9rocsolver6v33100L18larfg_kernel_smallILi512EfifPfEEvT1_T3_llPT2_llS4_lS3_lPT0_l
    .private_segment_fixed_size: 0
    .sgpr_count:     27
    .sgpr_spill_count: 0
    .symbol:         _ZN9rocsolver6v33100L18larfg_kernel_smallILi512EfifPfEEvT1_T3_llPT2_llS4_lS3_lPT0_l.kd
    .uniform_work_group_size: 1
    .uses_dynamic_stack: false
    .vgpr_count:     16
    .vgpr_spill_count: 0
    .wavefront_size: 32
  - .args:
      - .offset:         0
        .size:           4
        .value_kind:     by_value
      - .address_space:  global
        .offset:         8
        .size:           8
        .value_kind:     global_buffer
      - .offset:         16
        .size:           8
        .value_kind:     by_value
      - .offset:         24
        .size:           8
        .value_kind:     by_value
      - .address_space:  global
        .offset:         32
        .size:           8
        .value_kind:     global_buffer
      - .offset:         40
        .size:           8
        .value_kind:     by_value
      - .offset:         48
        .size:           8
        .value_kind:     by_value
      - .address_space:  global
        .offset:         56
        .size:           8
        .value_kind:     global_buffer
      - .offset:         64
        .size:           8
        .value_kind:     by_value
      - .offset:         72
        .size:           4
        .value_kind:     by_value
      - .offset:         80
        .size:           8
        .value_kind:     by_value
      - .address_space:  global
        .offset:         88
        .size:           8
        .value_kind:     global_buffer
      - .offset:         96
        .size:           8
        .value_kind:     by_value
    .group_segment_fixed_size: 128
    .kernarg_segment_align: 8
    .kernarg_segment_size: 104
    .language:       OpenCL C
    .language_version:
      - 2
      - 0
    .max_flat_workgroup_size: 1024
    .name:           _ZN9rocsolver6v33100L18larfg_kernel_smallILi1024EfifPfEEvT1_T3_llPT2_llS4_lS3_lPT0_l
    .private_segment_fixed_size: 0
    .sgpr_count:     27
    .sgpr_spill_count: 0
    .symbol:         _ZN9rocsolver6v33100L18larfg_kernel_smallILi1024EfifPfEEvT1_T3_llPT2_llS4_lS3_lPT0_l.kd
    .uniform_work_group_size: 1
    .uses_dynamic_stack: false
    .vgpr_count:     16
    .vgpr_spill_count: 0
    .wavefront_size: 32
  - .args:
      - .offset:         0
        .size:           4
        .value_kind:     by_value
      - .address_space:  global
        .offset:         8
        .size:           8
        .value_kind:     global_buffer
      - .offset:         16
        .size:           8
        .value_kind:     by_value
      - .offset:         24
        .size:           8
        .value_kind:     by_value
      - .address_space:  global
        .offset:         32
        .size:           8
        .value_kind:     global_buffer
      - .offset:         40
        .size:           8
        .value_kind:     by_value
      - .offset:         48
        .size:           8
        .value_kind:     by_value
      - .address_space:  global
        .offset:         56
        .size:           8
        .value_kind:     global_buffer
      - .offset:         64
        .size:           8
        .value_kind:     by_value
      - .offset:         72
        .size:           4
        .value_kind:     by_value
      - .offset:         80
        .size:           8
        .value_kind:     by_value
      - .address_space:  global
        .offset:         88
        .size:           8
        .value_kind:     global_buffer
      - .offset:         96
        .size:           8
        .value_kind:     by_value
    .group_segment_fixed_size: 8
    .kernarg_segment_align: 8
    .kernarg_segment_size: 104
    .language:       OpenCL C
    .language_version:
      - 2
      - 0
    .max_flat_workgroup_size: 64
    .name:           _ZN9rocsolver6v33100L18larfg_kernel_smallILi64EfifPKPfEEvT1_T3_llPT2_llS6_lS5_lPT0_l
    .private_segment_fixed_size: 0
    .sgpr_count:     30
    .sgpr_spill_count: 0
    .symbol:         _ZN9rocsolver6v33100L18larfg_kernel_smallILi64EfifPKPfEEvT1_T3_llPT2_llS6_lS5_lPT0_l.kd
    .uniform_work_group_size: 1
    .uses_dynamic_stack: false
    .vgpr_count:     10
    .vgpr_spill_count: 0
    .wavefront_size: 32
  - .args:
      - .offset:         0
        .size:           4
        .value_kind:     by_value
      - .address_space:  global
        .offset:         8
        .size:           8
        .value_kind:     global_buffer
      - .offset:         16
        .size:           8
        .value_kind:     by_value
      - .offset:         24
        .size:           8
        .value_kind:     by_value
      - .address_space:  global
        .offset:         32
        .size:           8
        .value_kind:     global_buffer
      - .offset:         40
        .size:           8
        .value_kind:     by_value
      - .offset:         48
        .size:           8
        .value_kind:     by_value
      - .address_space:  global
        .offset:         56
        .size:           8
        .value_kind:     global_buffer
      - .offset:         64
        .size:           8
        .value_kind:     by_value
      - .offset:         72
        .size:           4
        .value_kind:     by_value
      - .offset:         80
        .size:           8
        .value_kind:     by_value
      - .address_space:  global
        .offset:         88
        .size:           8
        .value_kind:     global_buffer
      - .offset:         96
        .size:           8
        .value_kind:     by_value
    .group_segment_fixed_size: 16
    .kernarg_segment_align: 8
    .kernarg_segment_size: 104
    .language:       OpenCL C
    .language_version:
      - 2
      - 0
    .max_flat_workgroup_size: 128
    .name:           _ZN9rocsolver6v33100L18larfg_kernel_smallILi128EfifPKPfEEvT1_T3_llPT2_llS6_lS5_lPT0_l
    .private_segment_fixed_size: 0
    .sgpr_count:     30
    .sgpr_spill_count: 0
    .symbol:         _ZN9rocsolver6v33100L18larfg_kernel_smallILi128EfifPKPfEEvT1_T3_llPT2_llS6_lS5_lPT0_l.kd
    .uniform_work_group_size: 1
    .uses_dynamic_stack: false
    .vgpr_count:     10
    .vgpr_spill_count: 0
    .wavefront_size: 32
  - .args:
      - .offset:         0
        .size:           4
        .value_kind:     by_value
      - .address_space:  global
        .offset:         8
        .size:           8
        .value_kind:     global_buffer
      - .offset:         16
        .size:           8
        .value_kind:     by_value
      - .offset:         24
        .size:           8
        .value_kind:     by_value
      - .address_space:  global
        .offset:         32
        .size:           8
        .value_kind:     global_buffer
      - .offset:         40
        .size:           8
        .value_kind:     by_value
      - .offset:         48
        .size:           8
        .value_kind:     by_value
      - .address_space:  global
        .offset:         56
        .size:           8
        .value_kind:     global_buffer
      - .offset:         64
        .size:           8
        .value_kind:     by_value
      - .offset:         72
        .size:           4
        .value_kind:     by_value
      - .offset:         80
        .size:           8
        .value_kind:     by_value
      - .address_space:  global
        .offset:         88
        .size:           8
        .value_kind:     global_buffer
      - .offset:         96
        .size:           8
        .value_kind:     by_value
    .group_segment_fixed_size: 32
    .kernarg_segment_align: 8
    .kernarg_segment_size: 104
    .language:       OpenCL C
    .language_version:
      - 2
      - 0
    .max_flat_workgroup_size: 256
    .name:           _ZN9rocsolver6v33100L18larfg_kernel_smallILi256EfifPKPfEEvT1_T3_llPT2_llS6_lS5_lPT0_l
    .private_segment_fixed_size: 0
    .sgpr_count:     30
    .sgpr_spill_count: 0
    .symbol:         _ZN9rocsolver6v33100L18larfg_kernel_smallILi256EfifPKPfEEvT1_T3_llPT2_llS6_lS5_lPT0_l.kd
    .uniform_work_group_size: 1
    .uses_dynamic_stack: false
    .vgpr_count:     11
    .vgpr_spill_count: 0
    .wavefront_size: 32
  - .args:
      - .offset:         0
        .size:           4
        .value_kind:     by_value
      - .address_space:  global
        .offset:         8
        .size:           8
        .value_kind:     global_buffer
      - .offset:         16
        .size:           8
        .value_kind:     by_value
      - .offset:         24
        .size:           8
        .value_kind:     by_value
      - .address_space:  global
        .offset:         32
        .size:           8
        .value_kind:     global_buffer
      - .offset:         40
        .size:           8
        .value_kind:     by_value
      - .offset:         48
        .size:           8
        .value_kind:     by_value
      - .address_space:  global
        .offset:         56
        .size:           8
        .value_kind:     global_buffer
      - .offset:         64
        .size:           8
        .value_kind:     by_value
      - .offset:         72
        .size:           4
        .value_kind:     by_value
      - .offset:         80
        .size:           8
        .value_kind:     by_value
      - .address_space:  global
        .offset:         88
        .size:           8
        .value_kind:     global_buffer
      - .offset:         96
        .size:           8
        .value_kind:     by_value
    .group_segment_fixed_size: 64
    .kernarg_segment_align: 8
    .kernarg_segment_size: 104
    .language:       OpenCL C
    .language_version:
      - 2
      - 0
    .max_flat_workgroup_size: 512
    .name:           _ZN9rocsolver6v33100L18larfg_kernel_smallILi512EfifPKPfEEvT1_T3_llPT2_llS6_lS5_lPT0_l
    .private_segment_fixed_size: 0
    .sgpr_count:     30
    .sgpr_spill_count: 0
    .symbol:         _ZN9rocsolver6v33100L18larfg_kernel_smallILi512EfifPKPfEEvT1_T3_llPT2_llS6_lS5_lPT0_l.kd
    .uniform_work_group_size: 1
    .uses_dynamic_stack: false
    .vgpr_count:     13
    .vgpr_spill_count: 0
    .wavefront_size: 32
  - .args:
      - .offset:         0
        .size:           4
        .value_kind:     by_value
      - .address_space:  global
        .offset:         8
        .size:           8
        .value_kind:     global_buffer
      - .offset:         16
        .size:           8
        .value_kind:     by_value
      - .offset:         24
        .size:           8
        .value_kind:     by_value
      - .address_space:  global
        .offset:         32
        .size:           8
        .value_kind:     global_buffer
      - .offset:         40
        .size:           8
        .value_kind:     by_value
      - .offset:         48
        .size:           8
        .value_kind:     by_value
      - .address_space:  global
        .offset:         56
        .size:           8
        .value_kind:     global_buffer
      - .offset:         64
        .size:           8
        .value_kind:     by_value
      - .offset:         72
        .size:           4
        .value_kind:     by_value
      - .offset:         80
        .size:           8
        .value_kind:     by_value
      - .address_space:  global
        .offset:         88
        .size:           8
        .value_kind:     global_buffer
      - .offset:         96
        .size:           8
        .value_kind:     by_value
    .group_segment_fixed_size: 128
    .kernarg_segment_align: 8
    .kernarg_segment_size: 104
    .language:       OpenCL C
    .language_version:
      - 2
      - 0
    .max_flat_workgroup_size: 1024
    .name:           _ZN9rocsolver6v33100L18larfg_kernel_smallILi1024EfifPKPfEEvT1_T3_llPT2_llS6_lS5_lPT0_l
    .private_segment_fixed_size: 0
    .sgpr_count:     30
    .sgpr_spill_count: 0
    .symbol:         _ZN9rocsolver6v33100L18larfg_kernel_smallILi1024EfifPKPfEEvT1_T3_llPT2_llS6_lS5_lPT0_l.kd
    .uniform_work_group_size: 1
    .uses_dynamic_stack: false
    .vgpr_count:     13
    .vgpr_spill_count: 0
    .wavefront_size: 32
  - .args:
      - .offset:         0
        .size:           8
        .value_kind:     by_value
      - .address_space:  global
        .offset:         8
        .size:           8
        .value_kind:     global_buffer
      - .offset:         16
        .size:           8
        .value_kind:     by_value
      - .offset:         24
        .size:           8
        .value_kind:     by_value
      - .address_space:  global
        .offset:         32
        .size:           8
        .value_kind:     global_buffer
      - .offset:         40
        .size:           8
        .value_kind:     by_value
      - .offset:         48
        .size:           8
        .value_kind:     by_value
      - .address_space:  global
        .offset:         56
        .size:           8
        .value_kind:     global_buffer
      - .offset:         64
        .size:           8
        .value_kind:     by_value
      - .offset:         72
        .size:           8
        .value_kind:     by_value
      - .offset:         80
        .size:           8
        .value_kind:     by_value
      - .address_space:  global
        .offset:         88
        .size:           8
        .value_kind:     global_buffer
      - .offset:         96
        .size:           8
        .value_kind:     by_value
    .group_segment_fixed_size: 8
    .kernarg_segment_align: 8
    .kernarg_segment_size: 104
    .language:       OpenCL C
    .language_version:
      - 2
      - 0
    .max_flat_workgroup_size: 64
    .name:           _ZN9rocsolver6v33100L18larfg_kernel_smallILi64EflfPfEEvT1_T3_llPT2_llS4_lS3_lPT0_l
    .private_segment_fixed_size: 0
    .sgpr_count:     34
    .sgpr_spill_count: 0
    .symbol:         _ZN9rocsolver6v33100L18larfg_kernel_smallILi64EflfPfEEvT1_T3_llPT2_llS4_lS3_lPT0_l.kd
    .uniform_work_group_size: 1
    .uses_dynamic_stack: false
    .vgpr_count:     18
    .vgpr_spill_count: 0
    .wavefront_size: 32
  - .args:
      - .offset:         0
        .size:           8
        .value_kind:     by_value
      - .address_space:  global
        .offset:         8
        .size:           8
        .value_kind:     global_buffer
      - .offset:         16
        .size:           8
        .value_kind:     by_value
      - .offset:         24
        .size:           8
        .value_kind:     by_value
      - .address_space:  global
        .offset:         32
        .size:           8
        .value_kind:     global_buffer
      - .offset:         40
        .size:           8
        .value_kind:     by_value
      - .offset:         48
        .size:           8
        .value_kind:     by_value
      - .address_space:  global
        .offset:         56
        .size:           8
        .value_kind:     global_buffer
      - .offset:         64
        .size:           8
        .value_kind:     by_value
      - .offset:         72
        .size:           8
        .value_kind:     by_value
      - .offset:         80
        .size:           8
        .value_kind:     by_value
      - .address_space:  global
        .offset:         88
        .size:           8
        .value_kind:     global_buffer
      - .offset:         96
        .size:           8
        .value_kind:     by_value
    .group_segment_fixed_size: 16
    .kernarg_segment_align: 8
    .kernarg_segment_size: 104
    .language:       OpenCL C
    .language_version:
      - 2
      - 0
    .max_flat_workgroup_size: 128
    .name:           _ZN9rocsolver6v33100L18larfg_kernel_smallILi128EflfPfEEvT1_T3_llPT2_llS4_lS3_lPT0_l
    .private_segment_fixed_size: 0
    .sgpr_count:     34
    .sgpr_spill_count: 0
    .symbol:         _ZN9rocsolver6v33100L18larfg_kernel_smallILi128EflfPfEEvT1_T3_llPT2_llS4_lS3_lPT0_l.kd
    .uniform_work_group_size: 1
    .uses_dynamic_stack: false
    .vgpr_count:     18
    .vgpr_spill_count: 0
    .wavefront_size: 32
  - .args:
      - .offset:         0
        .size:           8
        .value_kind:     by_value
      - .address_space:  global
        .offset:         8
        .size:           8
        .value_kind:     global_buffer
      - .offset:         16
        .size:           8
        .value_kind:     by_value
      - .offset:         24
        .size:           8
        .value_kind:     by_value
      - .address_space:  global
        .offset:         32
        .size:           8
        .value_kind:     global_buffer
      - .offset:         40
        .size:           8
        .value_kind:     by_value
      - .offset:         48
        .size:           8
        .value_kind:     by_value
      - .address_space:  global
        .offset:         56
        .size:           8
        .value_kind:     global_buffer
      - .offset:         64
        .size:           8
        .value_kind:     by_value
      - .offset:         72
        .size:           8
        .value_kind:     by_value
      - .offset:         80
        .size:           8
        .value_kind:     by_value
      - .address_space:  global
        .offset:         88
        .size:           8
        .value_kind:     global_buffer
      - .offset:         96
        .size:           8
        .value_kind:     by_value
    .group_segment_fixed_size: 32
    .kernarg_segment_align: 8
    .kernarg_segment_size: 104
    .language:       OpenCL C
    .language_version:
      - 2
      - 0
    .max_flat_workgroup_size: 256
    .name:           _ZN9rocsolver6v33100L18larfg_kernel_smallILi256EflfPfEEvT1_T3_llPT2_llS4_lS3_lPT0_l
    .private_segment_fixed_size: 0
    .sgpr_count:     34
    .sgpr_spill_count: 0
    .symbol:         _ZN9rocsolver6v33100L18larfg_kernel_smallILi256EflfPfEEvT1_T3_llPT2_llS4_lS3_lPT0_l.kd
    .uniform_work_group_size: 1
    .uses_dynamic_stack: false
    .vgpr_count:     18
    .vgpr_spill_count: 0
    .wavefront_size: 32
  - .args:
      - .offset:         0
        .size:           8
        .value_kind:     by_value
      - .address_space:  global
        .offset:         8
        .size:           8
        .value_kind:     global_buffer
      - .offset:         16
        .size:           8
        .value_kind:     by_value
      - .offset:         24
        .size:           8
        .value_kind:     by_value
      - .address_space:  global
        .offset:         32
        .size:           8
        .value_kind:     global_buffer
      - .offset:         40
        .size:           8
        .value_kind:     by_value
      - .offset:         48
        .size:           8
        .value_kind:     by_value
      - .address_space:  global
        .offset:         56
        .size:           8
        .value_kind:     global_buffer
      - .offset:         64
        .size:           8
        .value_kind:     by_value
      - .offset:         72
        .size:           8
        .value_kind:     by_value
      - .offset:         80
        .size:           8
        .value_kind:     by_value
      - .address_space:  global
        .offset:         88
        .size:           8
        .value_kind:     global_buffer
      - .offset:         96
        .size:           8
        .value_kind:     by_value
    .group_segment_fixed_size: 64
    .kernarg_segment_align: 8
    .kernarg_segment_size: 104
    .language:       OpenCL C
    .language_version:
      - 2
      - 0
    .max_flat_workgroup_size: 512
    .name:           _ZN9rocsolver6v33100L18larfg_kernel_smallILi512EflfPfEEvT1_T3_llPT2_llS4_lS3_lPT0_l
    .private_segment_fixed_size: 0
    .sgpr_count:     34
    .sgpr_spill_count: 0
    .symbol:         _ZN9rocsolver6v33100L18larfg_kernel_smallILi512EflfPfEEvT1_T3_llPT2_llS4_lS3_lPT0_l.kd
    .uniform_work_group_size: 1
    .uses_dynamic_stack: false
    .vgpr_count:     18
    .vgpr_spill_count: 0
    .wavefront_size: 32
  - .args:
      - .offset:         0
        .size:           8
        .value_kind:     by_value
      - .address_space:  global
        .offset:         8
        .size:           8
        .value_kind:     global_buffer
      - .offset:         16
        .size:           8
        .value_kind:     by_value
      - .offset:         24
        .size:           8
        .value_kind:     by_value
      - .address_space:  global
        .offset:         32
        .size:           8
        .value_kind:     global_buffer
      - .offset:         40
        .size:           8
        .value_kind:     by_value
      - .offset:         48
        .size:           8
        .value_kind:     by_value
      - .address_space:  global
        .offset:         56
        .size:           8
        .value_kind:     global_buffer
      - .offset:         64
        .size:           8
        .value_kind:     by_value
      - .offset:         72
        .size:           8
        .value_kind:     by_value
      - .offset:         80
        .size:           8
        .value_kind:     by_value
      - .address_space:  global
        .offset:         88
        .size:           8
        .value_kind:     global_buffer
      - .offset:         96
        .size:           8
        .value_kind:     by_value
    .group_segment_fixed_size: 128
    .kernarg_segment_align: 8
    .kernarg_segment_size: 104
    .language:       OpenCL C
    .language_version:
      - 2
      - 0
    .max_flat_workgroup_size: 1024
    .name:           _ZN9rocsolver6v33100L18larfg_kernel_smallILi1024EflfPfEEvT1_T3_llPT2_llS4_lS3_lPT0_l
    .private_segment_fixed_size: 0
    .sgpr_count:     34
    .sgpr_spill_count: 0
    .symbol:         _ZN9rocsolver6v33100L18larfg_kernel_smallILi1024EflfPfEEvT1_T3_llPT2_llS4_lS3_lPT0_l.kd
    .uniform_work_group_size: 1
    .uses_dynamic_stack: false
    .vgpr_count:     18
    .vgpr_spill_count: 0
    .wavefront_size: 32
  - .args:
      - .offset:         0
        .size:           8
        .value_kind:     by_value
      - .address_space:  global
        .offset:         8
        .size:           8
        .value_kind:     global_buffer
      - .offset:         16
        .size:           8
        .value_kind:     by_value
      - .offset:         24
        .size:           8
        .value_kind:     by_value
      - .address_space:  global
        .offset:         32
        .size:           8
        .value_kind:     global_buffer
      - .offset:         40
        .size:           8
        .value_kind:     by_value
      - .offset:         48
        .size:           8
        .value_kind:     by_value
      - .address_space:  global
        .offset:         56
        .size:           8
        .value_kind:     global_buffer
      - .offset:         64
        .size:           8
        .value_kind:     by_value
      - .offset:         72
        .size:           8
        .value_kind:     by_value
      - .offset:         80
        .size:           8
        .value_kind:     by_value
      - .address_space:  global
        .offset:         88
        .size:           8
        .value_kind:     global_buffer
      - .offset:         96
        .size:           8
        .value_kind:     by_value
    .group_segment_fixed_size: 8
    .kernarg_segment_align: 8
    .kernarg_segment_size: 104
    .language:       OpenCL C
    .language_version:
      - 2
      - 0
    .max_flat_workgroup_size: 64
    .name:           _ZN9rocsolver6v33100L18larfg_kernel_smallILi64EflfPKPfEEvT1_T3_llPT2_llS6_lS5_lPT0_l
    .private_segment_fixed_size: 0
    .sgpr_count:     28
    .sgpr_spill_count: 0
    .symbol:         _ZN9rocsolver6v33100L18larfg_kernel_smallILi64EflfPKPfEEvT1_T3_llPT2_llS6_lS5_lPT0_l.kd
    .uniform_work_group_size: 1
    .uses_dynamic_stack: false
    .vgpr_count:     12
    .vgpr_spill_count: 0
    .wavefront_size: 32
  - .args:
      - .offset:         0
        .size:           8
        .value_kind:     by_value
      - .address_space:  global
        .offset:         8
        .size:           8
        .value_kind:     global_buffer
      - .offset:         16
        .size:           8
        .value_kind:     by_value
      - .offset:         24
        .size:           8
        .value_kind:     by_value
      - .address_space:  global
        .offset:         32
        .size:           8
        .value_kind:     global_buffer
      - .offset:         40
        .size:           8
        .value_kind:     by_value
      - .offset:         48
        .size:           8
        .value_kind:     by_value
      - .address_space:  global
        .offset:         56
        .size:           8
        .value_kind:     global_buffer
      - .offset:         64
        .size:           8
        .value_kind:     by_value
      - .offset:         72
        .size:           8
        .value_kind:     by_value
      - .offset:         80
        .size:           8
        .value_kind:     by_value
      - .address_space:  global
        .offset:         88
        .size:           8
        .value_kind:     global_buffer
      - .offset:         96
        .size:           8
        .value_kind:     by_value
    .group_segment_fixed_size: 16
    .kernarg_segment_align: 8
    .kernarg_segment_size: 104
    .language:       OpenCL C
    .language_version:
      - 2
      - 0
    .max_flat_workgroup_size: 128
    .name:           _ZN9rocsolver6v33100L18larfg_kernel_smallILi128EflfPKPfEEvT1_T3_llPT2_llS6_lS5_lPT0_l
    .private_segment_fixed_size: 0
    .sgpr_count:     28
    .sgpr_spill_count: 0
    .symbol:         _ZN9rocsolver6v33100L18larfg_kernel_smallILi128EflfPKPfEEvT1_T3_llPT2_llS6_lS5_lPT0_l.kd
    .uniform_work_group_size: 1
    .uses_dynamic_stack: false
    .vgpr_count:     12
    .vgpr_spill_count: 0
    .wavefront_size: 32
  - .args:
      - .offset:         0
        .size:           8
        .value_kind:     by_value
      - .address_space:  global
        .offset:         8
        .size:           8
        .value_kind:     global_buffer
      - .offset:         16
        .size:           8
        .value_kind:     by_value
      - .offset:         24
        .size:           8
        .value_kind:     by_value
      - .address_space:  global
        .offset:         32
        .size:           8
        .value_kind:     global_buffer
      - .offset:         40
        .size:           8
        .value_kind:     by_value
      - .offset:         48
        .size:           8
        .value_kind:     by_value
      - .address_space:  global
        .offset:         56
        .size:           8
        .value_kind:     global_buffer
      - .offset:         64
        .size:           8
        .value_kind:     by_value
      - .offset:         72
        .size:           8
        .value_kind:     by_value
      - .offset:         80
        .size:           8
        .value_kind:     by_value
      - .address_space:  global
        .offset:         88
        .size:           8
        .value_kind:     global_buffer
      - .offset:         96
        .size:           8
        .value_kind:     by_value
    .group_segment_fixed_size: 32
    .kernarg_segment_align: 8
    .kernarg_segment_size: 104
    .language:       OpenCL C
    .language_version:
      - 2
      - 0
    .max_flat_workgroup_size: 256
    .name:           _ZN9rocsolver6v33100L18larfg_kernel_smallILi256EflfPKPfEEvT1_T3_llPT2_llS6_lS5_lPT0_l
    .private_segment_fixed_size: 0
    .sgpr_count:     28
    .sgpr_spill_count: 0
    .symbol:         _ZN9rocsolver6v33100L18larfg_kernel_smallILi256EflfPKPfEEvT1_T3_llPT2_llS6_lS5_lPT0_l.kd
    .uniform_work_group_size: 1
    .uses_dynamic_stack: false
    .vgpr_count:     13
    .vgpr_spill_count: 0
    .wavefront_size: 32
  - .args:
      - .offset:         0
        .size:           8
        .value_kind:     by_value
      - .address_space:  global
        .offset:         8
        .size:           8
        .value_kind:     global_buffer
      - .offset:         16
        .size:           8
        .value_kind:     by_value
      - .offset:         24
        .size:           8
        .value_kind:     by_value
      - .address_space:  global
        .offset:         32
        .size:           8
        .value_kind:     global_buffer
      - .offset:         40
        .size:           8
        .value_kind:     by_value
      - .offset:         48
        .size:           8
        .value_kind:     by_value
      - .address_space:  global
        .offset:         56
        .size:           8
        .value_kind:     global_buffer
      - .offset:         64
        .size:           8
        .value_kind:     by_value
      - .offset:         72
        .size:           8
        .value_kind:     by_value
      - .offset:         80
        .size:           8
        .value_kind:     by_value
      - .address_space:  global
        .offset:         88
        .size:           8
        .value_kind:     global_buffer
      - .offset:         96
        .size:           8
        .value_kind:     by_value
    .group_segment_fixed_size: 64
    .kernarg_segment_align: 8
    .kernarg_segment_size: 104
    .language:       OpenCL C
    .language_version:
      - 2
      - 0
    .max_flat_workgroup_size: 512
    .name:           _ZN9rocsolver6v33100L18larfg_kernel_smallILi512EflfPKPfEEvT1_T3_llPT2_llS6_lS5_lPT0_l
    .private_segment_fixed_size: 0
    .sgpr_count:     28
    .sgpr_spill_count: 0
    .symbol:         _ZN9rocsolver6v33100L18larfg_kernel_smallILi512EflfPKPfEEvT1_T3_llPT2_llS6_lS5_lPT0_l.kd
    .uniform_work_group_size: 1
    .uses_dynamic_stack: false
    .vgpr_count:     15
    .vgpr_spill_count: 0
    .wavefront_size: 32
  - .args:
      - .offset:         0
        .size:           8
        .value_kind:     by_value
      - .address_space:  global
        .offset:         8
        .size:           8
        .value_kind:     global_buffer
      - .offset:         16
        .size:           8
        .value_kind:     by_value
      - .offset:         24
        .size:           8
        .value_kind:     by_value
      - .address_space:  global
        .offset:         32
        .size:           8
        .value_kind:     global_buffer
      - .offset:         40
        .size:           8
        .value_kind:     by_value
      - .offset:         48
        .size:           8
        .value_kind:     by_value
      - .address_space:  global
        .offset:         56
        .size:           8
        .value_kind:     global_buffer
      - .offset:         64
        .size:           8
        .value_kind:     by_value
      - .offset:         72
        .size:           8
        .value_kind:     by_value
      - .offset:         80
        .size:           8
        .value_kind:     by_value
      - .address_space:  global
        .offset:         88
        .size:           8
        .value_kind:     global_buffer
      - .offset:         96
        .size:           8
        .value_kind:     by_value
    .group_segment_fixed_size: 128
    .kernarg_segment_align: 8
    .kernarg_segment_size: 104
    .language:       OpenCL C
    .language_version:
      - 2
      - 0
    .max_flat_workgroup_size: 1024
    .name:           _ZN9rocsolver6v33100L18larfg_kernel_smallILi1024EflfPKPfEEvT1_T3_llPT2_llS6_lS5_lPT0_l
    .private_segment_fixed_size: 0
    .sgpr_count:     28
    .sgpr_spill_count: 0
    .symbol:         _ZN9rocsolver6v33100L18larfg_kernel_smallILi1024EflfPKPfEEvT1_T3_llPT2_llS6_lS5_lPT0_l.kd
    .uniform_work_group_size: 1
    .uses_dynamic_stack: false
    .vgpr_count:     15
    .vgpr_spill_count: 0
    .wavefront_size: 32
amdhsa.target:   amdgcn-amd-amdhsa--gfx1250
amdhsa.version:
  - 1
  - 2
...

	.end_amdgpu_metadata
